;; amdgpu-corpus repo=ROCm/rocFFT kind=compiled arch=gfx950 opt=O3
	.text
	.amdgcn_target "amdgcn-amd-amdhsa--gfx950"
	.amdhsa_code_object_version 6
	.protected	bluestein_single_back_len1617_dim1_sp_op_CI_CI ; -- Begin function bluestein_single_back_len1617_dim1_sp_op_CI_CI
	.globl	bluestein_single_back_len1617_dim1_sp_op_CI_CI
	.p2align	8
	.type	bluestein_single_back_len1617_dim1_sp_op_CI_CI,@function
bluestein_single_back_len1617_dim1_sp_op_CI_CI: ; @bluestein_single_back_len1617_dim1_sp_op_CI_CI
; %bb.0:
	s_load_dwordx4 s[8:11], s[0:1], 0x28
	v_mul_u32_u24_e32 v1, 0x11c, v0
	v_mov_b32_e32 v65, 0
	v_add_u32_sdwa v66, s2, v1 dst_sel:DWORD dst_unused:UNUSED_PAD src0_sel:DWORD src1_sel:WORD_1
	v_mov_b32_e32 v67, v65
	s_waitcnt lgkmcnt(0)
	v_cmp_gt_u64_e32 vcc, s[8:9], v[66:67]
	s_and_saveexec_b64 s[2:3], vcc
	s_cbranch_execz .LBB0_23
; %bb.1:
	s_load_dwordx4 s[4:7], s[0:1], 0x18
	s_load_dwordx2 s[14:15], s[0:1], 0x0
	v_mov_b32_e32 v2, s10
	v_mov_b32_e32 v3, s11
	s_movk_i32 s2, 0xe7
	s_waitcnt lgkmcnt(0)
	s_load_dwordx4 s[8:11], s[4:5], 0x0
	v_mul_lo_u16_sdwa v1, v1, s2 dst_sel:DWORD dst_unused:UNUSED_PAD src0_sel:WORD_1 src1_sel:DWORD
	v_sub_u16_e32 v64, v0, v1
	v_lshlrev_b32_e32 v60, 3, v64
	v_mov_b32_e32 v61, v65
	s_waitcnt lgkmcnt(0)
	v_mad_u64_u32 v[0:1], s[2:3], s10, v66, 0
	v_mov_b32_e32 v4, v1
	v_mad_u64_u32 v[4:5], s[2:3], s11, v66, v[4:5]
	v_mov_b32_e32 v1, v4
	v_mad_u64_u32 v[4:5], s[2:3], s8, v64, 0
	v_mov_b32_e32 v6, v5
	v_mad_u64_u32 v[6:7], s[2:3], s9, v64, v[6:7]
	s_mul_i32 s2, s9, 0x21b
	s_mul_hi_u32 s3, s8, 0x21b
	v_mov_b32_e32 v5, v6
	v_lshl_add_u64 v[0:1], v[0:1], 3, v[2:3]
	s_add_i32 s3, s3, s2
	s_mul_i32 s2, s8, 0x21b
	v_lshl_add_u64 v[0:1], v[4:5], 3, v[0:1]
	v_lshl_add_u64 v[62:63], s[14:15], 0, v[60:61]
	s_lshl_b64 s[2:3], s[2:3], 3
	s_movk_i32 s4, 0x1000
	global_load_dwordx2 v[78:79], v60, s[14:15]
	v_lshl_add_u64 v[2:3], v[0:1], 0, s[2:3]
	global_load_dwordx2 v[4:5], v[0:1], off
	global_load_dwordx2 v[6:7], v[2:3], off
	v_add_co_u32_e32 v0, vcc, s4, v62
	s_movk_i32 s4, 0x2000
	s_nop 0
	v_addc_co_u32_e32 v1, vcc, 0, v63, vcc
	s_mul_hi_u32 s5, s8, 0xfffffcb1
	global_load_dwordx2 v[76:77], v[0:1], off offset:216
	v_add_co_u32_e32 v10, vcc, s4, v62
	s_mul_i32 s4, s9, 0xfffffcb1
	s_sub_i32 s5, s5, s8
	v_lshl_add_u64 v[2:3], v[2:3], 0, s[2:3]
	v_addc_co_u32_e32 v11, vcc, 0, v63, vcc
	s_add_i32 s5, s5, s4
	s_mul_i32 s4, s8, 0xfffffcb1
	global_load_dwordx2 v[8:9], v[2:3], off
	global_load_dwordx2 v[72:73], v[10:11], off offset:432
	v_lshl_add_u64 v[2:3], s[4:5], 3, v[2:3]
	global_load_dwordx2 v[74:75], v60, s[14:15] offset:1848
	global_load_dwordx2 v[12:13], v[2:3], off
	v_lshl_add_u64 v[2:3], v[2:3], 0, s[2:3]
	global_load_dwordx2 v[14:15], v[2:3], off
	global_load_dwordx2 v[70:71], v[0:1], off offset:2064
	v_lshl_add_u64 v[2:3], v[2:3], 0, s[2:3]
	global_load_dwordx2 v[68:69], v[10:11], off offset:2280
	global_load_dwordx2 v[16:17], v[2:3], off
	s_load_dwordx2 s[12:13], s[0:1], 0x38
	s_load_dwordx4 s[8:11], s[6:7], 0x0
	s_movk_i32 s16, 0x4d
	v_cmp_gt_u16_e64 s[6:7], s16, v64
	s_waitcnt vmcnt(10)
	v_mul_f32_e32 v10, v5, v79
	v_mul_f32_e32 v11, v4, v79
	v_fmac_f32_e32 v10, v4, v78
	v_fma_f32 v11, v5, v78, -v11
	s_waitcnt vmcnt(8)
	v_mul_f32_e32 v4, v7, v77
	v_mul_f32_e32 v5, v6, v77
	v_fmac_f32_e32 v4, v6, v76
	v_fma_f32 v5, v7, v76, -v5
	ds_write_b64 v60, v[4:5] offset:4312
	s_waitcnt vmcnt(6)
	v_mul_f32_e32 v6, v9, v73
	v_mul_f32_e32 v7, v8, v73
	s_waitcnt vmcnt(4)
	v_mul_f32_e32 v4, v13, v75
	v_mul_f32_e32 v5, v12, v75
	v_fmac_f32_e32 v6, v8, v72
	v_fma_f32 v7, v9, v72, -v7
	v_fmac_f32_e32 v4, v12, v74
	v_fma_f32 v5, v13, v74, -v5
	ds_write_b64 v60, v[6:7] offset:8624
	s_waitcnt vmcnt(2)
	v_mul_f32_e32 v6, v15, v71
	v_mul_f32_e32 v7, v14, v71
	ds_write2_b64 v60, v[10:11], v[4:5] offset1:231
	s_waitcnt vmcnt(0)
	v_mul_f32_e32 v4, v17, v69
	v_mul_f32_e32 v5, v16, v69
	v_fmac_f32_e32 v6, v14, v70
	v_fma_f32 v7, v15, v70, -v7
	v_fmac_f32_e32 v4, v16, v68
	v_fma_f32 v5, v17, v68, -v5
	ds_write_b64 v60, v[6:7] offset:6160
	ds_write_b64 v60, v[4:5] offset:10472
	s_and_saveexec_b64 s[16:17], s[6:7]
	s_cbranch_execz .LBB0_3
; %bb.2:
	v_lshl_add_u64 v[2:3], s[4:5], 3, v[2:3]
	global_load_dwordx2 v[4:5], v[2:3], off
	v_lshl_add_u64 v[2:3], v[2:3], 0, s[2:3]
	global_load_dwordx2 v[6:7], v[2:3], off
	global_load_dwordx2 v[8:9], v[62:63], off offset:3696
	global_load_dwordx2 v[10:11], v[0:1], off offset:3912
	v_lshl_add_u64 v[0:1], v[2:3], 0, s[2:3]
	v_add_co_u32_e32 v2, vcc, 0x3000, v62
	s_nop 1
	v_addc_co_u32_e32 v3, vcc, 0, v63, vcc
	global_load_dwordx2 v[12:13], v[2:3], off offset:32
	global_load_dwordx2 v[14:15], v[0:1], off
	s_waitcnt vmcnt(3)
	v_mul_f32_e32 v0, v5, v9
	v_mul_f32_e32 v1, v4, v9
	v_fmac_f32_e32 v0, v4, v8
	v_fma_f32 v1, v5, v8, -v1
	s_waitcnt vmcnt(2)
	v_mul_f32_e32 v2, v7, v11
	v_mul_f32_e32 v3, v6, v11
	ds_write_b64 v60, v[0:1] offset:3696
	v_fmac_f32_e32 v2, v6, v10
	s_waitcnt vmcnt(0)
	v_mul_f32_e32 v0, v15, v13
	v_mul_f32_e32 v1, v14, v13
	v_fma_f32 v3, v7, v10, -v3
	v_fmac_f32_e32 v0, v14, v12
	v_fma_f32 v1, v15, v12, -v1
	ds_write_b64 v60, v[2:3] offset:8008
	ds_write_b64 v60, v[0:1] offset:12320
.LBB0_3:
	s_or_b64 exec, exec, s[16:17]
	v_add_u32_e32 v4, 0x1080, v60
	v_add_u32_e32 v8, 0x2100, v60
	s_load_dwordx2 s[0:1], s[0:1], 0x8
	s_waitcnt lgkmcnt(0)
	s_barrier
	ds_read2_b64 v[0:3], v60 offset1:231
	ds_read2_b64 v[4:7], v4 offset0:11 offset1:242
	ds_read2_b64 v[8:11], v8 offset0:22 offset1:253
                                        ; implicit-def: $vgpr12
                                        ; implicit-def: $vgpr14
                                        ; implicit-def: $vgpr16
	s_and_saveexec_b64 s[2:3], s[6:7]
	s_cbranch_execz .LBB0_5
; %bb.4:
	ds_read_b64 v[12:13], v60 offset:3696
	ds_read_b64 v[14:15], v60 offset:8008
	;; [unrolled: 1-line block ×3, first 2 shown]
.LBB0_5:
	s_or_b64 exec, exec, s[2:3]
	s_mov_b64 s[2:3], 0x1ce
	v_lshl_add_u64 v[18:19], v[64:65], 0, s[2:3]
	s_waitcnt lgkmcnt(0)
	v_pk_add_f32 v[24:25], v[14:15], v[16:17]
	v_pk_add_f32 v[26:27], v[14:15], v[16:17] neg_lo:[0,1] neg_hi:[0,1]
	s_mov_b32 s2, 0x3f5db3d7
	v_pk_fma_f32 v[24:25], v[24:25], 0.5, v[12:13] op_sel_hi:[1,0,1] neg_lo:[1,0,0] neg_hi:[1,0,0]
	v_pk_mul_f32 v[26:27], v[26:27], s[2:3] op_sel_hi:[1,0]
	v_pk_add_f32 v[20:21], v[0:1], v[4:5]
	v_pk_add_f32 v[44:45], v[24:25], v[26:27] op_sel:[0,1] op_sel_hi:[1,0] neg_lo:[0,1] neg_hi:[0,1]
	v_pk_add_f32 v[82:83], v[24:25], v[26:27] op_sel:[0,1] op_sel_hi:[1,0]
	v_pk_add_f32 v[24:25], v[4:5], v[8:9]
	v_pk_add_f32 v[4:5], v[4:5], v[8:9] neg_lo:[0,1] neg_hi:[0,1]
	v_pk_fma_f32 v[0:1], v[24:25], 0.5, v[0:1] op_sel_hi:[1,0,1] neg_lo:[1,0,0] neg_hi:[1,0,0]
	v_pk_mul_f32 v[4:5], v[4:5], s[2:3] op_sel_hi:[1,0]
	v_mul_lo_u16_e32 v19, 3, v64
	v_pk_add_f32 v[20:21], v[20:21], v[8:9]
	v_pk_add_f32 v[8:9], v[0:1], v[4:5] op_sel:[0,1] op_sel_hi:[1,0]
	v_pk_add_f32 v[0:1], v[0:1], v[4:5] op_sel:[0,1] op_sel_hi:[1,0] neg_lo:[0,1] neg_hi:[0,1]
	v_lshlrev_b32_e32 v65, 3, v19
	v_mov_b32_e32 v4, v8
	v_mov_b32_e32 v5, v1
	s_barrier
	ds_write2_b64 v65, v[20:21], v[4:5] offset1:1
	v_pk_add_f32 v[4:5], v[6:7], v[10:11]
	v_pk_add_f32 v[22:23], v[2:3], v[6:7]
	v_pk_fma_f32 v[2:3], v[4:5], 0.5, v[2:3] op_sel_hi:[1,0,1] neg_lo:[1,0,0] neg_hi:[1,0,0]
	v_pk_add_f32 v[4:5], v[6:7], v[10:11] neg_lo:[0,1] neg_hi:[0,1]
	v_add_u32_e32 v28, 0xe7, v64
	v_mov_b32_e32 v1, v9
	v_pk_mul_f32 v[4:5], v[4:5], s[2:3] op_sel_hi:[1,0]
	ds_write_b64 v65, v[0:1] offset:16
	v_mul_u32_u24_e32 v0, 3, v28
	v_pk_add_f32 v[6:7], v[2:3], v[4:5] op_sel:[0,1] op_sel_hi:[1,0]
	v_pk_add_f32 v[2:3], v[2:3], v[4:5] op_sel:[0,1] op_sel_hi:[1,0] neg_lo:[0,1] neg_hi:[0,1]
	v_lshlrev_b32_e32 v67, 3, v0
	v_pk_add_f32 v[0:1], v[22:23], v[10:11]
	v_mov_b32_e32 v4, v6
	v_mov_b32_e32 v5, v3
	;; [unrolled: 1-line block ×3, first 2 shown]
	v_mul_u32_u24_e32 v198, 3, v18
	ds_write2_b64 v67, v[0:1], v[4:5] offset1:1
	ds_write_b64 v67, v[2:3] offset:16
	s_and_saveexec_b64 s[2:3], s[6:7]
	s_cbranch_execz .LBB0_7
; %bb.6:
	v_pk_add_f32 v[0:1], v[12:13], v[14:15]
	v_lshlrev_b32_e32 v4, 3, v198
	v_pk_add_f32 v[0:1], v[0:1], v[16:17]
	v_mov_b32_e32 v2, v82
	v_mov_b32_e32 v3, v45
	ds_write2_b64 v4, v[0:1], v[2:3] offset1:1
	v_mov_b32_e32 v0, v44
	v_mov_b32_e32 v1, v83
	ds_write_b64 v4, v[0:1] offset:16
.LBB0_7:
	s_or_b64 exec, exec, s[2:3]
	s_movk_i32 s2, 0xab
	v_mul_lo_u16_sdwa v0, v64, s2 dst_sel:DWORD dst_unused:UNUSED_PAD src0_sel:BYTE_0 src1_sel:DWORD
	v_lshrrev_b16_e32 v26, 9, v0
	v_mul_lo_u16_e32 v0, 3, v26
	v_sub_u16_e32 v0, v64, v0
	v_and_b32_e32 v27, 0xff, v0
	v_mul_u32_u24_e32 v0, 6, v27
	v_lshlrev_b32_e32 v12, 3, v0
	s_waitcnt lgkmcnt(0)
	s_barrier
	global_load_dwordx4 v[8:11], v12, s[0:1] offset:16
	global_load_dwordx4 v[4:7], v12, s[0:1]
	global_load_dwordx4 v[0:3], v12, s[0:1] offset:32
	v_add_u32_e32 v48, 0xe00, v60
	v_add_u32_e32 v49, 0x1c80, v60
	ds_read2_b64 v[12:15], v60 offset1:231
	ds_read_b64 v[24:25], v60 offset:11088
	ds_read2_b64 v[16:19], v48 offset0:14 offset1:245
	ds_read2_b64 v[20:23], v49 offset0:12 offset1:243
	v_mul_u32_u24_e32 v26, 21, v26
	v_add_lshl_u32 v61, v26, v27, 3
	s_mov_b32 s4, 0x3eae86e6
	s_waitcnt lgkmcnt(1)
	v_mov_b32_e32 v26, v17
	s_waitcnt lgkmcnt(0)
	v_mov_b32_e32 v27, v20
	v_mov_b32_e32 v28, v23
	;; [unrolled: 1-line block ×3, first 2 shown]
	s_mov_b32 s5, 0xbf08b237
	s_mov_b32 s18, 0x3d64c772
	;; [unrolled: 1-line block ×8, first 2 shown]
	s_barrier
	s_waitcnt vmcnt(2)
	v_mul_f32_e32 v31, v19, v8
	v_mul_f32_e32 v33, v18, v9
	;; [unrolled: 1-line block ×4, first 2 shown]
	s_waitcnt vmcnt(1)
	v_mul_f32_e32 v30, v17, v7
	s_waitcnt vmcnt(0)
	v_mul_f32_e32 v32, v23, v1
	v_mov_b32_e32 v17, v21
	v_mov_b32_e32 v20, v7
	;; [unrolled: 1-line block ×6, first 2 shown]
	v_pk_mul_f32 v[38:39], v[14:15], v[4:5] op_sel_hi:[1,0]
	v_mov_b32_e32 v40, v6
	v_mov_b32_e32 v41, v10
	;; [unrolled: 1-line block ×4, first 2 shown]
	v_pk_mul_f32 v[46:47], v[24:25], v[2:3] op_sel_hi:[1,0]
	v_mov_b32_e32 v34, v3
	v_fma_f32 v30, v16, v6, -v30
	v_pk_mul_f32 v[16:17], v[16:17], v[20:21]
	v_pk_mul_f32 v[18:19], v[22:23], v[18:19]
	v_fma_f32 v32, v22, v0, -v32
	v_pk_fma_f32 v[20:21], v[14:15], v[4:5], v[38:39] op_sel:[0,1,1] op_sel_hi:[1,1,0]
	v_pk_fma_f32 v[14:15], v[14:15], v[4:5], v[38:39] op_sel:[0,1,1] op_sel_hi:[1,1,0] neg_lo:[1,0,0] neg_hi:[1,0,0]
	v_pk_fma_f32 v[22:23], v[24:25], v[34:35], v[46:47] op_sel:[0,0,1] op_sel_hi:[1,0,0]
	v_pk_fma_f32 v[24:25], v[24:25], v[34:35], v[46:47] op_sel:[0,0,1] op_sel_hi:[1,0,0] neg_lo:[1,0,0] neg_hi:[1,0,0]
	v_pk_fma_f32 v[46:47], v[26:27], v[6:7], v[16:17]
	v_pk_fma_f32 v[16:17], v[26:27], v[40:41], v[16:17] neg_lo:[0,0,1] neg_hi:[0,0,1]
	v_pk_fma_f32 v[26:27], v[28:29], v[0:1], v[18:19]
	v_pk_fma_f32 v[18:19], v[28:29], v[42:43], v[18:19] neg_lo:[0,0,1] neg_hi:[0,0,1]
	v_mov_b32_e32 v21, v15
	v_mov_b32_e32 v23, v25
	;; [unrolled: 1-line block ×6, first 2 shown]
	v_pk_add_f32 v[38:39], v[30:31], v[32:33]
	v_mov_b32_e32 v15, v30
	v_pk_add_f32 v[28:29], v[20:21], v[22:23]
	v_pk_add_f32 v[20:21], v[20:21], v[22:23] neg_lo:[0,1] neg_hi:[0,1]
	v_pk_add_f32 v[22:23], v[34:35], v[36:37]
	v_pk_add_f32 v[30:31], v[46:47], v[26:27]
	v_mov_b32_e32 v25, v32
	v_mov_b32_e32 v24, v39
	;; [unrolled: 1-line block ×7, first 2 shown]
	v_pk_add_f32 v[36:37], v[38:39], v[22:23]
	v_pk_add_f32 v[14:15], v[14:15], v[24:25] neg_lo:[0,1] neg_hi:[0,1]
	v_pk_add_f32 v[16:17], v[16:17], v[18:19]
	v_pk_add_f32 v[26:27], v[46:47], v[26:27] neg_lo:[0,1] neg_hi:[0,1]
	v_mov_b32_e32 v35, v21
	v_mov_b32_e32 v41, v28
	;; [unrolled: 1-line block ×7, first 2 shown]
	v_pk_add_f32 v[34:35], v[34:35], v[26:27] neg_lo:[0,1] neg_hi:[0,1]
	v_pk_add_f32 v[40:41], v[40:41], v[38:39] neg_lo:[0,1] neg_hi:[0,1]
	v_mov_b32_e32 v23, v37
	v_mov_b32_e32 v42, v16
	;; [unrolled: 1-line block ×3, first 2 shown]
	v_pk_add_f32 v[16:17], v[36:37], v[16:17]
	v_pk_add_f32 v[24:25], v[32:33], v[14:15] neg_lo:[0,1] neg_hi:[0,1]
	v_pk_add_f32 v[32:33], v[26:27], v[14:15]
	v_pk_mul_f32 v[34:35], v[34:35], s[16:17]
	v_pk_add_f32 v[42:43], v[22:23], v[42:43] neg_lo:[0,1] neg_hi:[0,1]
	v_pk_add_f32 v[12:13], v[12:13], v[16:17]
	s_mov_b32 s16, 0xbf955555
	v_pk_mul_f32 v[36:37], v[40:41], s[18:19]
	v_pk_mul_f32 v[18:19], v[24:25], s[4:5]
	v_pk_add_f32 v[32:33], v[32:33], v[20:21]
	v_pk_mul_f32 v[40:41], v[42:43], s[20:21]
	v_pk_fma_f32 v[16:17], v[16:17], s[16:17], v[12:13] op_sel_hi:[1,0,1]
	v_pk_fma_f32 v[42:43], v[42:43], s[20:21], v[36:37]
	v_pk_fma_f32 v[24:25], v[24:25], s[4:5], v[34:35]
	v_pk_add_f32 v[42:43], v[42:43], v[16:17]
	v_pk_fma_f32 v[24:25], v[32:33], s[2:3], v[24:25] op_sel_hi:[1,0,1]
	v_mov_b32_e32 v27, v15
	v_pk_add_f32 v[46:47], v[42:43], v[24:25]
	v_pk_add_f32 v[24:25], v[42:43], v[24:25] neg_lo:[0,1] neg_hi:[0,1]
	v_mov_b32_e32 v42, v46
	v_mov_b32_e32 v43, v25
	;; [unrolled: 1-line block ×4, first 2 shown]
	ds_write2_b64 v61, v[12:13], v[42:43] offset1:3
	v_pk_add_f32 v[12:13], v[26:27], v[20:21] neg_lo:[0,1] neg_hi:[0,1]
	s_mov_b32 s16, 0x3f5ff5aa
	v_pk_add_f32 v[14:15], v[38:39], v[22:23] neg_lo:[0,1] neg_hi:[0,1]
	s_mov_b32 s20, 0x3f3bfb3b
	v_mov_b32_e32 v20, v40
	v_mov_b32_e32 v21, v37
	;; [unrolled: 1-line block ×6, first 2 shown]
	v_pk_fma_f32 v[20:21], v[14:15], s[20:21], v[20:21] op_sel_hi:[1,0,1] neg_lo:[1,0,1] neg_hi:[1,0,1]
	v_pk_fma_f32 v[22:23], v[12:13], s[16:17], v[22:23] op_sel_hi:[1,0,1] neg_lo:[1,0,1] neg_hi:[1,0,1]
	;; [unrolled: 1-line block ×4, first 2 shown]
	v_pk_add_f32 v[20:21], v[20:21], v[16:17]
	v_pk_fma_f32 v[22:23], v[32:33], s[2:3], v[22:23] op_sel_hi:[1,0,1]
	v_pk_add_f32 v[14:15], v[14:15], v[16:17]
	v_pk_fma_f32 v[12:13], v[32:33], s[2:3], v[12:13] op_sel_hi:[1,0,1]
	v_pk_add_f32 v[26:27], v[20:21], v[22:23]
	v_pk_add_f32 v[20:21], v[20:21], v[22:23] neg_lo:[0,1] neg_hi:[0,1]
	v_pk_add_f32 v[16:17], v[14:15], v[12:13] neg_lo:[0,1] neg_hi:[0,1]
	v_pk_add_f32 v[12:13], v[14:15], v[12:13]
	v_mov_b32_e32 v23, v21
	v_mov_b32_e32 v15, v13
	;; [unrolled: 1-line block ×4, first 2 shown]
	s_movk_i32 s3, 0x87
	ds_write2_b64 v61, v[12:13], v[20:21] offset0:12 offset1:15
	v_mul_lo_u16_sdwa v12, v64, s3 dst_sel:DWORD dst_unused:UNUSED_PAD src0_sel:BYTE_0 src1_sel:DWORD
	v_sub_u16_sdwa v13, v64, v12 dst_sel:DWORD dst_unused:UNUSED_PAD src0_sel:DWORD src1_sel:BYTE_1
	v_lshrrev_b16_e32 v13, 1, v13
	v_and_b32_e32 v13, 0x7f, v13
	v_add_u16_sdwa v12, v13, v12 dst_sel:DWORD dst_unused:UNUSED_PAD src0_sel:DWORD src1_sel:BYTE_1
	v_lshrrev_b16_e32 v12, 4, v12
	v_and_b32_e32 v56, 15, v12
	v_mul_lo_u16_e32 v12, 21, v56
	v_sub_u16_e32 v12, v64, v12
	v_mov_b32_e32 v25, v47
	v_and_b32_e32 v57, 0xff, v12
	v_mov_b32_e32 v22, v26
	v_mov_b32_e32 v14, v16
	ds_write_b64 v61, v[24:25] offset:144
	v_mad_u64_u32 v[24:25], s[22:23], v57, 48, s[0:1]
	ds_write2_b64 v61, v[22:23], v[14:15] offset0:6 offset1:9
	s_waitcnt lgkmcnt(0)
	s_barrier
	global_load_dwordx4 v[12:15], v[24:25], off offset:176
	global_load_dwordx4 v[20:23], v[24:25], off offset:144
	;; [unrolled: 1-line block ×3, first 2 shown]
	ds_read2_b64 v[24:27], v48 offset0:14 offset1:245
	ds_read2_b64 v[28:31], v49 offset0:12 offset1:243
	s_mov_b32 s3, 0xbf4a47b2
	s_waitcnt lgkmcnt(1)
	v_mov_b32_e32 v46, v25
	s_waitcnt lgkmcnt(0)
	v_mov_b32_e32 v47, v28
	s_waitcnt vmcnt(2)
	v_mov_b32_e32 v80, v15
	s_waitcnt vmcnt(1)
	v_pk_mul_f32 v[32:33], v[24:25], v[22:23]
	v_mov_b32_e32 v48, v23
	v_mov_b32_e32 v32, v33
	v_pk_fma_f32 v[36:37], v[24:25], v[22:23], v[32:33] neg_lo:[0,0,1] neg_hi:[0,0,1]
	v_pk_mul_f32 v[32:33], v[30:31], v[12:13]
	v_mov_b32_e32 v25, v29
	v_mov_b32_e32 v32, v33
	s_waitcnt vmcnt(0)
	v_mov_b32_e32 v49, v19
	v_mul_f32_e32 v38, v26, v17
	v_mul_f32_e32 v37, v27, v16
	v_pk_fma_f32 v[42:43], v[30:31], v[12:13], v[32:33] neg_lo:[0,0,1] neg_hi:[0,0,1]
	v_pk_mul_f32 v[24:25], v[24:25], v[48:49]
	v_mov_b32_e32 v48, v31
	v_mov_b32_e32 v49, v26
	;; [unrolled: 1-line block ×3, first 2 shown]
	ds_read_b64 v[26:27], v60 offset:11088
	ds_read2_b64 v[32:35], v60 offset1:231
	v_mul_f32_e32 v39, v29, v18
	v_mul_f32_e32 v41, v28, v19
	v_mov_b32_e32 v28, v13
	v_mov_b32_e32 v29, v17
	v_pk_mul_f32 v[28:29], v[30:31], v[28:29]
	s_waitcnt lgkmcnt(1)
	v_pk_mul_f32 v[30:31], v[26:27], v[14:15] op_sel_hi:[1,0]
	v_mov_b32_e32 v43, v38
	v_pk_fma_f32 v[50:51], v[26:27], v[80:81], v[30:31] op_sel:[0,0,1] op_sel_hi:[1,0,0]
	v_pk_fma_f32 v[26:27], v[26:27], v[80:81], v[30:31] op_sel:[0,0,1] op_sel_hi:[1,0,0] neg_lo:[1,0,0] neg_hi:[1,0,0]
	s_waitcnt lgkmcnt(0)
	v_pk_mul_f32 v[30:31], v[34:35], v[20:21] op_sel_hi:[1,0]
	v_mov_b32_e32 v40, v27
	v_pk_fma_f32 v[52:53], v[34:35], v[20:21], v[30:31] op_sel:[0,1,1] op_sel_hi:[1,1,0]
	v_pk_fma_f32 v[30:31], v[34:35], v[20:21], v[30:31] op_sel:[0,1,1] op_sel_hi:[1,1,0] neg_lo:[1,0,0] neg_hi:[1,0,0]
	v_mov_b32_e32 v26, v50
	v_mov_b32_e32 v38, v31
	v_pk_add_f32 v[38:39], v[38:39], v[40:41]
	v_mov_b32_e32 v40, v22
	v_mov_b32_e32 v41, v18
	v_pk_fma_f32 v[40:41], v[46:47], v[40:41], v[24:25] neg_lo:[0,0,1] neg_hi:[0,0,1]
	v_pk_fma_f32 v[24:25], v[46:47], v[22:23], v[24:25]
	v_mov_b32_e32 v46, v12
	v_mov_b32_e32 v47, v16
	v_pk_fma_f32 v[46:47], v[48:49], v[46:47], v[28:29] neg_lo:[0,0,1] neg_hi:[0,0,1]
	v_pk_fma_f32 v[28:29], v[48:49], v[12:13], v[28:29]
	v_mov_b32_e32 v25, v41
	v_mov_b32_e32 v29, v47
	;; [unrolled: 1-line block ×3, first 2 shown]
	v_pk_add_f32 v[34:35], v[52:53], v[50:51]
	v_pk_add_f32 v[48:49], v[24:25], v[28:29]
	v_pk_add_f32 v[30:31], v[30:31], v[26:27] neg_lo:[0,1] neg_hi:[0,1]
	v_pk_add_f32 v[26:27], v[36:37], v[42:43]
	v_mov_b32_e32 v46, v47
	v_mov_b32_e32 v47, v48
	;; [unrolled: 1-line block ×4, first 2 shown]
	v_pk_add_f32 v[24:25], v[24:25], v[28:29] neg_lo:[0,1] neg_hi:[0,1]
	v_pk_add_f32 v[28:29], v[26:27], v[38:39]
	v_mov_b32_e32 v37, v36
	v_mov_b32_e32 v36, v39
	;; [unrolled: 1-line block ×4, first 2 shown]
	v_pk_add_f32 v[40:41], v[46:47], v[40:41]
	v_mov_b32_e32 v27, v48
	v_mov_b32_e32 v39, v34
	;; [unrolled: 1-line block ×3, first 2 shown]
	v_pk_add_f32 v[50:51], v[26:27], v[38:39] neg_lo:[0,1] neg_hi:[0,1]
	v_sub_f32_e32 v15, v38, v40
	v_mov_b32_e32 v38, v29
	v_mov_b32_e32 v39, v25
	v_pk_add_f32 v[34:35], v[34:35], v[38:39] neg_lo:[0,1] neg_hi:[0,1]
	v_mov_b32_e32 v38, v40
	v_mov_b32_e32 v39, v29
	v_pk_add_f32 v[36:37], v[36:37], v[42:43] neg_lo:[0,1] neg_hi:[0,1]
	v_pk_add_f32 v[26:27], v[38:39], v[26:27] neg_lo:[0,1] neg_hi:[0,1]
	v_mov_b32_e32 v42, v24
	v_mov_b32_e32 v43, v37
	v_pk_add_f32 v[38:39], v[24:25], v[36:37]
	v_mov_b32_e32 v37, v25
	v_pk_mul_f32 v[26:27], v[26:27], s[18:19] op_sel_hi:[1,0]
	s_mov_b32 s18, s19
	s_mov_b32 s19, s4
	v_pk_add_f32 v[46:47], v[42:43], v[30:31] neg_lo:[0,1] neg_hi:[0,1]
	v_pk_add_f32 v[24:25], v[36:37], v[42:43] neg_lo:[0,1] neg_hi:[0,1]
	v_sub_f32_e32 v52, v30, v36
	v_pk_add_f32 v[28:29], v[28:29], v[40:41]
	v_pk_mul_f32 v[36:37], v[50:51], s[20:21] op_sel_hi:[1,0]
	v_pk_mul_f32 v[40:41], v[34:35], s[18:19]
	s_mov_b32 s4, s5
	v_pk_add_f32 v[30:31], v[38:39], v[30:31]
	v_pk_add_f32 v[48:49], v[32:33], v[28:29]
	v_mul_f32_e32 v33, 0x3f955555, v29
	v_fmamk_f32 v39, v15, 0x3f4a47b2, v26
	v_fma_f32 v38, v15, s3, -v36
	v_pk_mul_f32 v[24:25], v[24:25], s[4:5] op_sel_hi:[1,0]
	v_sub_f32_e64 v29, -v40, v37
	v_pk_mul_f32 v[36:37], v[46:47], s[16:17] op_sel_hi:[1,0]
	v_pk_fma_f32 v[42:43], v[50:51], s[20:21], v[26:27] op_sel_hi:[1,0,1] neg_lo:[0,0,1] neg_hi:[0,0,1]
	v_mov_b32_e32 v26, v27
	v_mov_b32_e32 v32, v41
	v_fmamk_f32 v40, v28, 0xbf955555, v48
	v_pk_fma_f32 v[26:27], v[34:35], s[18:19], v[26:27]
	v_pk_fma_f32 v[34:35], v[34:35], s[18:19], v[36:37] neg_lo:[1,0,1] neg_hi:[1,0,1]
	v_mov_b32_e32 v28, v25
	v_mov_b32_e32 v27, v35
	v_pk_add_f32 v[34:35], v[28:29], v[32:33]
	v_pk_add_f32 v[32:33], v[48:49], v[32:33] neg_lo:[0,1] neg_hi:[0,1]
	v_pk_mul_f32 v[50:51], v[30:31], s[2:3] op_sel_hi:[1,0]
	v_mov_b32_e32 v35, v33
	v_mov_b32_e32 v28, v51
	v_pk_add_f32 v[28:29], v[28:29], v[34:35]
	v_pk_fma_f32 v[34:35], v[46:47], s[16:17], v[24:25] op_sel_hi:[1,0,1] neg_lo:[0,0,1] neg_hi:[0,0,1]
	s_mov_b32 s3, 0xbeae86e6
	v_fmac_f32_e32 v24, 0x3eae86e6, v52
	v_pk_fma_f32 v[30:31], v[30:31], s[2:3], v[34:35] op_sel_hi:[1,0,1]
	v_mov_b32_e32 v34, v33
	v_mov_b32_e32 v35, v51
	v_mov_b32_e32 v41, v33
	v_fma_f32 v32, v52, s3, -v36
	v_pk_add_f32 v[26:27], v[26:27], v[34:35]
	v_mov_b32_e32 v33, v24
	v_pk_add_f32 v[34:35], v[38:39], v[40:41] op_sel_hi:[1,0]
	v_pk_add_f32 v[24:25], v[50:51], v[32:33] op_sel_hi:[0,1]
	v_mov_b32_e32 v32, v29
	v_mov_b32_e32 v33, v26
	;; [unrolled: 1-line block ×4, first 2 shown]
	s_movk_i32 s2, 0x93
	v_pk_add_f32 v[36:37], v[42:43], v[40:41]
	v_pk_add_f32 v[86:87], v[24:25], v[34:35]
	v_pk_add_f32 v[50:51], v[32:33], v[38:39] neg_lo:[0,1] neg_hi:[0,1]
	v_mul_u32_u24_sdwa v15, v56, s2 dst_sel:DWORD dst_unused:UNUSED_PAD src0_sel:WORD_0 src1_sel:DWORD
	v_pk_add_f32 v[84:85], v[30:31], v[36:37]
	v_pk_add_f32 v[54:55], v[36:37], v[30:31] neg_lo:[0,1] neg_hi:[0,1]
	v_pk_add_f32 v[58:59], v[34:35], v[24:25] neg_lo:[0,1] neg_hi:[0,1]
	v_add_lshl_u32 v199, v15, v57, 3
	v_mov_b32_e32 v24, v87
	v_mov_b32_e32 v25, v51
	v_pk_add_f32 v[88:89], v[26:27], v[28:29]
	s_barrier
	ds_write2_b64 v199, v[48:49], v[24:25] offset1:21
	v_mov_b32_e32 v24, v86
	v_mov_b32_e32 v25, v50
	;; [unrolled: 1-line block ×4, first 2 shown]
	ds_write2_b64 v199, v[24:25], v[26:27] offset0:42 offset1:63
	v_mov_b32_e32 v24, v84
	v_mov_b32_e32 v25, v55
	;; [unrolled: 1-line block ×4, first 2 shown]
	s_movk_i32 s4, 0x92
	ds_write2_b64 v199, v[24:25], v[26:27] offset0:84 offset1:105
	v_mov_b32_e32 v24, v59
	v_mov_b32_e32 v25, v88
	v_cmp_gt_u16_e64 s[2:3], s2, v64
	v_cmp_lt_u16_e64 s[4:5], s4, v64
	ds_write_b64 v199, v[24:25] offset:1008
	s_waitcnt lgkmcnt(0)
	s_barrier
	s_and_saveexec_b64 s[16:17], s[4:5]
	s_xor_b64 s[16:17], exec, s[16:17]
	s_or_saveexec_b64 s[16:17], s[16:17]
                                        ; implicit-def: $vgpr52
                                        ; implicit-def: $vgpr90
                                        ; implicit-def: $vgpr56
	s_xor_b64 exec, exec, s[16:17]
	s_cbranch_execz .LBB0_9
; %bb.8:
	v_add_u32_e32 v15, 0x800, v60
	ds_read2_b64 v[52:55], v15 offset0:38 offset1:185
	v_add_u32_e32 v15, 0x1a00, v60
	ds_read2_b64 v[24:27], v15 offset0:50 offset1:197
	;; [unrolled: 2-line block ×3, first 2 shown]
	v_add_u32_e32 v15, 0x1000, v60
	ds_read2_b64 v[48:51], v60 offset1:147
	ds_read2_b64 v[56:59], v15 offset0:76 offset1:223
	ds_read_b64 v[90:91], v60 offset:11760
	s_waitcnt lgkmcnt(4)
	v_mov_b32_e32 v82, v26
	s_waitcnt lgkmcnt(3)
	v_mov_b32_e32 v83, v45
	v_mov_b32_e32 v45, v27
	;; [unrolled: 1-line block ×3, first 2 shown]
	s_waitcnt lgkmcnt(1)
	v_mov_b32_e32 v89, v59
	v_mov_b32_e32 v84, v56
	;; [unrolled: 1-line block ×9, first 2 shown]
	s_waitcnt lgkmcnt(0)
	v_mov_b32_e32 v56, v91
.LBB0_9:
	s_or_b64 exec, exec, s[16:17]
	v_add_u32_e32 v15, 0xffffff6d, v64
	v_cndmask_b32_e64 v15, v15, v64, s[2:3]
	v_mul_hi_i32_i24_e32 v25, 0x50, v15
	v_mul_i32_i24_e32 v24, 0x50, v15
	v_lshl_add_u64 v[92:93], s[0:1], 0, v[24:25]
	global_load_dwordx4 v[24:27], v[92:93], off offset:1152
	global_load_dwordx4 v[36:39], v[92:93], off offset:1168
	;; [unrolled: 1-line block ×5, first 2 shown]
	s_mov_b32 s30, 0xbf68dda4
	s_mov_b32 s0, 0x3ed4b147
	;; [unrolled: 1-line block ×11, first 2 shown]
	s_waitcnt vmcnt(4)
	v_pk_mul_f32 v[92:93], v[50:51], v[24:25] op_sel:[1,0]
	s_waitcnt vmcnt(3)
	v_pk_mul_f32 v[96:97], v[84:85], v[36:37] op_sel:[1,0]
	v_pk_mul_f32 v[94:95], v[50:51], v[26:27] op_sel_hi:[0,1]
	v_pk_mul_f32 v[98:99], v[54:55], v[38:39] op_sel:[1,0]
	s_waitcnt vmcnt(0)
	v_pk_mul_f32 v[108:109], v[56:57], v[42:43] op_sel_hi:[0,1]
	v_pk_mul_f32 v[100:101], v[88:89], v[28:29] op_sel:[1,0]
	v_pk_mul_f32 v[88:89], v[88:89], v[30:31] op_sel_hi:[0,1]
	v_pk_mul_f32 v[102:103], v[44:45], v[32:33] op_sel:[1,0]
	v_pk_mul_f32 v[104:105], v[82:83], v[34:35] op_sel:[1,0]
	v_pk_mul_f32 v[106:107], v[52:53], v[40:41] op_sel_hi:[0,1]
	v_pk_fma_f32 v[50:51], v[86:87], v[24:25], v[92:93] op_sel:[1,0,1] op_sel_hi:[1,1,0] neg_lo:[0,0,1] neg_hi:[0,0,1]
	v_pk_fma_f32 v[110:111], v[86:87], v[24:25], v[92:93] op_sel:[1,0,1] op_sel_hi:[1,1,0]
	v_pk_fma_f32 v[56:57], v[54:55], v[36:37], v[96:97] op_sel:[0,0,1] op_sel_hi:[1,1,0] neg_lo:[0,0,1] neg_hi:[0,0,1]
	v_pk_fma_f32 v[112:113], v[54:55], v[36:37], v[96:97] op_sel:[0,0,1] op_sel_hi:[0,1,0]
	;; [unrolled: 2-line block ×10, first 2 shown]
	v_mov_b32_e32 v51, v111
	v_mov_b32_e32 v97, v91
	;; [unrolled: 1-line block ×4, first 2 shown]
	v_pk_add_f32 v[86:87], v[50:51], v[96:97] neg_lo:[0,1] neg_hi:[0,1]
	v_mov_b32_e32 v57, v113
	v_mov_b32_e32 v59, v83
	;; [unrolled: 1-line block ×3, first 2 shown]
	v_pk_add_f32 v[46:47], v[50:51], v[96:97]
	v_pk_add_f32 v[90:91], v[52:53], v[44:45] neg_lo:[0,1] neg_hi:[0,1]
	v_pk_mul_f32 v[82:83], v[86:87], s[30:31] op_sel:[1,0] op_sel_hi:[0,0]
	v_mov_b32_e32 v55, v99
	v_mov_b32_e32 v93, v89
	v_pk_add_f32 v[88:89], v[52:53], v[44:45]
	v_pk_add_f32 v[158:159], v[56:57], v[94:95] neg_lo:[0,1] neg_hi:[0,1]
	v_pk_mul_f32 v[98:99], v[90:91], s[18:19] op_sel:[1,0] op_sel_hi:[0,0]
	v_pk_fma_f32 v[110:111], v[46:47], s[0:1], v[82:83] op_sel_hi:[1,0,1]
	v_pk_fma_f32 v[112:113], v[46:47], s[0:1], v[82:83] op_sel_hi:[1,0,1] neg_lo:[0,0,1] neg_hi:[0,0,1]
	v_mov_b32_e32 v85, v101
	v_pk_add_f32 v[160:161], v[56:57], v[94:95]
	v_pk_add_f32 v[166:167], v[54:55], v[58:59] neg_lo:[0,1] neg_hi:[0,1]
	v_pk_mul_f32 v[100:101], v[158:159], s[24:25] op_sel:[1,0] op_sel_hi:[0,0]
	v_pk_fma_f32 v[106:107], v[88:89], s[16:17], v[98:99] op_sel_hi:[1,0,1]
	v_pk_fma_f32 v[108:109], v[88:89], s[16:17], v[98:99] op_sel_hi:[1,0,1] neg_lo:[0,0,1] neg_hi:[0,0,1]
	v_mov_b32_e32 v82, v110
	v_mov_b32_e32 v83, v113
	v_pk_add_f32 v[168:169], v[54:55], v[58:59]
	v_pk_mul_f32 v[114:115], v[166:167], s[26:27] op_sel:[1,0] op_sel_hi:[0,0]
	v_pk_fma_f32 v[102:103], v[160:161], s[22:23], v[100:101] op_sel_hi:[1,0,1]
	v_pk_fma_f32 v[104:105], v[160:161], s[22:23], v[100:101] op_sel_hi:[1,0,1] neg_lo:[0,0,1] neg_hi:[0,0,1]
	v_mov_b32_e32 v118, v106
	v_mov_b32_e32 v119, v109
	v_pk_add_f32 v[82:83], v[48:49], v[82:83]
	;; [unrolled: 6-line block ×3, first 2 shown]
	v_pk_fma_f32 v[114:115], v[46:47], s[28:29], v[116:117] op_sel_hi:[1,0,1]
	v_pk_fma_f32 v[116:117], v[46:47], s[28:29], v[116:117] op_sel_hi:[1,0,1] neg_lo:[0,0,1] neg_hi:[0,0,1]
	v_mov_b32_e32 v122, v98
	v_mov_b32_e32 v123, v101
	v_pk_add_f32 v[82:83], v[120:121], v[82:83]
	v_pk_mul_f32 v[118:119], v[90:91], s[30:31] op_sel:[1,0] op_sel_hi:[0,0]
	v_pk_add_f32 v[200:201], v[122:123], v[82:83]
	v_mov_b32_e32 v82, v114
	v_mov_b32_e32 v83, v117
	v_pk_fma_f32 v[126:127], v[88:89], s[0:1], v[118:119] op_sel_hi:[1,0,1]
	v_pk_fma_f32 v[128:129], v[88:89], s[0:1], v[118:119] op_sel_hi:[1,0,1] neg_lo:[0,0,1] neg_hi:[0,0,1]
	v_pk_add_f32 v[82:83], v[48:49], v[82:83]
	v_mov_b32_e32 v118, v126
	v_mov_b32_e32 v119, v129
	s_mov_b32 s30, 0xbf7d64f0
	v_pk_add_f32 v[82:83], v[118:119], v[82:83]
	v_pk_mul_f32 v[118:119], v[158:159], s[30:31] op_sel:[1,0] op_sel_hi:[0,0]
	v_pk_fma_f32 v[130:131], v[160:161], s[20:21], v[118:119] op_sel_hi:[1,0,1]
	v_pk_fma_f32 v[132:133], v[160:161], s[20:21], v[118:119] op_sel_hi:[1,0,1] neg_lo:[0,0,1] neg_hi:[0,0,1]
	v_mov_b32_e32 v118, v130
	v_mov_b32_e32 v119, v133
	v_pk_add_f32 v[82:83], v[118:119], v[82:83]
	v_pk_mul_f32 v[118:119], v[166:167], s[18:19] op_sel:[1,0] op_sel_hi:[0,0]
	v_pk_fma_f32 v[134:135], v[168:169], s[16:17], v[118:119] op_sel_hi:[1,0,1]
	v_pk_fma_f32 v[136:137], v[168:169], s[16:17], v[118:119] op_sel_hi:[1,0,1] neg_lo:[0,0,1] neg_hi:[0,0,1]
	v_mov_b32_e32 v118, v134
	v_mov_b32_e32 v119, v137
	v_pk_add_f32 v[178:179], v[84:85], v[92:93] neg_lo:[0,1] neg_hi:[0,1]
	v_pk_add_f32 v[82:83], v[118:119], v[82:83]
	v_pk_add_f32 v[180:181], v[84:85], v[92:93]
	v_pk_mul_f32 v[118:119], v[178:179], s[36:37] op_sel:[1,0] op_sel_hi:[0,0]
	v_pk_fma_f32 v[146:147], v[180:181], s[22:23], v[118:119] op_sel_hi:[1,0,1]
	v_pk_fma_f32 v[148:149], v[180:181], s[22:23], v[118:119] op_sel_hi:[1,0,1] neg_lo:[0,0,1] neg_hi:[0,0,1]
	v_mov_b32_e32 v118, v146
	v_mov_b32_e32 v119, v149
	v_pk_add_f32 v[82:83], v[118:119], v[82:83]
	v_pk_mul_f32 v[118:119], v[86:87], s[30:31] op_sel:[1,0] op_sel_hi:[0,0]
	v_pk_fma_f32 v[138:139], v[46:47], s[20:21], v[118:119] op_sel_hi:[1,0,1]
	v_pk_fma_f32 v[140:141], v[46:47], s[20:21], v[118:119] op_sel_hi:[1,0,1] neg_lo:[0,0,1] neg_hi:[0,0,1]
	v_pk_mul_f32 v[118:119], v[86:87], s[18:19] op_sel:[1,0] op_sel_hi:[0,0]
	v_pk_mul_f32 v[86:87], v[86:87], s[36:37] op_sel:[1,0] op_sel_hi:[0,0]
	v_pk_fma_f32 v[122:123], v[46:47], s[16:17], v[118:119] op_sel_hi:[1,0,1]
	v_pk_fma_f32 v[124:125], v[46:47], s[16:17], v[118:119] op_sel_hi:[1,0,1] neg_lo:[0,0,1] neg_hi:[0,0,1]
	v_pk_fma_f32 v[118:119], v[46:47], s[22:23], v[86:87] op_sel_hi:[1,0,1] neg_lo:[0,0,1] neg_hi:[0,0,1]
	v_pk_fma_f32 v[120:121], v[46:47], s[22:23], v[86:87] op_sel_hi:[1,0,1]
	v_pk_mul_f32 v[86:87], v[90:91], s[24:25] op_sel:[1,0] op_sel_hi:[0,0]
	v_mov_b32_e32 v46, v138
	v_mov_b32_e32 v47, v141
	v_pk_fma_f32 v[154:155], v[88:89], s[22:23], v[86:87] op_sel_hi:[1,0,1]
	v_pk_fma_f32 v[156:157], v[88:89], s[22:23], v[86:87] op_sel_hi:[1,0,1] neg_lo:[0,0,1] neg_hi:[0,0,1]
	v_pk_add_f32 v[46:47], v[48:49], v[46:47]
	v_mov_b32_e32 v86, v154
	v_mov_b32_e32 v87, v157
	v_pk_mul_f32 v[142:143], v[90:91], s[26:27] op_sel:[1,0] op_sel_hi:[0,0]
	v_pk_add_f32 v[46:47], v[86:87], v[46:47]
	v_mov_b32_e32 v86, v122
	v_mov_b32_e32 v87, v125
	v_pk_fma_f32 v[150:151], v[88:89], s[20:21], v[142:143] op_sel_hi:[1,0,1]
	v_pk_fma_f32 v[152:153], v[88:89], s[20:21], v[142:143] op_sel_hi:[1,0,1] neg_lo:[0,0,1] neg_hi:[0,0,1]
	s_mov_b32 s24, 0x3f0a6770
	v_pk_add_f32 v[86:87], v[48:49], v[86:87]
	v_mov_b32_e32 v142, v150
	v_mov_b32_e32 v143, v153
	v_pk_mul_f32 v[90:91], v[90:91], s[24:25] op_sel:[1,0] op_sel_hi:[0,0]
	v_pk_add_f32 v[86:87], v[142:143], v[86:87]
	v_pk_fma_f32 v[142:143], v[88:89], s[28:29], v[90:91] op_sel_hi:[1,0,1] neg_lo:[0,0,1] neg_hi:[0,0,1]
	v_pk_fma_f32 v[144:145], v[88:89], s[28:29], v[90:91] op_sel_hi:[1,0,1]
	v_mov_b32_e32 v88, v119
	v_mov_b32_e32 v89, v120
	v_pk_add_f32 v[88:89], v[48:49], v[88:89] op_sel:[1,0] op_sel_hi:[0,1]
	v_mov_b32_e32 v90, v143
	v_mov_b32_e32 v91, v144
	s_mov_b32 s26, 0x3f68dda4
	v_pk_add_f32 v[88:89], v[90:91], v[88:89]
	v_pk_mul_f32 v[90:91], v[158:159], s[26:27] op_sel:[1,0] op_sel_hi:[0,0]
	v_pk_fma_f32 v[170:171], v[160:161], s[0:1], v[90:91] op_sel_hi:[1,0,1]
	v_pk_fma_f32 v[172:173], v[160:161], s[0:1], v[90:91] op_sel_hi:[1,0,1] neg_lo:[0,0,1] neg_hi:[0,0,1]
	v_mov_b32_e32 v90, v170
	v_mov_b32_e32 v91, v173
	v_pk_add_f32 v[46:47], v[90:91], v[46:47]
	v_pk_mul_f32 v[90:91], v[158:159], s[34:35] op_sel:[1,0] op_sel_hi:[0,0]
	v_pk_fma_f32 v[162:163], v[160:161], s[28:29], v[90:91] op_sel_hi:[1,0,1]
	v_pk_fma_f32 v[164:165], v[160:161], s[28:29], v[90:91] op_sel_hi:[1,0,1] neg_lo:[0,0,1] neg_hi:[0,0,1]
	v_mov_b32_e32 v90, v162
	v_mov_b32_e32 v91, v165
	v_pk_add_f32 v[86:87], v[90:91], v[86:87]
	v_pk_mul_f32 v[90:91], v[158:159], s[18:19] op_sel:[1,0] op_sel_hi:[0,0]
	v_pk_fma_f32 v[158:159], v[160:161], s[16:17], v[90:91] op_sel_hi:[1,0,1] neg_lo:[0,0,1] neg_hi:[0,0,1]
	v_pk_fma_f32 v[160:161], v[160:161], s[16:17], v[90:91] op_sel_hi:[1,0,1]
	v_mov_b32_e32 v90, v159
	v_mov_b32_e32 v91, v160
	v_pk_add_f32 v[88:89], v[90:91], v[88:89]
	v_pk_mul_f32 v[90:91], v[166:167], s[34:35] op_sel:[1,0] op_sel_hi:[0,0]
	v_pk_fma_f32 v[182:183], v[168:169], s[28:29], v[90:91] op_sel_hi:[1,0,1]
	v_pk_fma_f32 v[184:185], v[168:169], s[28:29], v[90:91] op_sel_hi:[1,0,1] neg_lo:[0,0,1] neg_hi:[0,0,1]
	v_mov_b32_e32 v90, v182
	v_mov_b32_e32 v91, v185
	v_pk_add_f32 v[46:47], v[90:91], v[46:47]
	v_pk_mul_f32 v[90:91], v[166:167], s[36:37] op_sel:[1,0] op_sel_hi:[0,0]
	v_pk_fma_f32 v[174:175], v[168:169], s[22:23], v[90:91] op_sel_hi:[1,0,1]
	v_pk_fma_f32 v[176:177], v[168:169], s[22:23], v[90:91] op_sel_hi:[1,0,1] neg_lo:[0,0,1] neg_hi:[0,0,1]
	v_mov_b32_e32 v90, v174
	v_mov_b32_e32 v91, v177
	v_pk_add_f32 v[90:91], v[90:91], v[86:87]
	v_pk_mul_f32 v[86:87], v[166:167], s[26:27] op_sel:[1,0] op_sel_hi:[0,0]
	v_pk_fma_f32 v[166:167], v[168:169], s[0:1], v[86:87] op_sel_hi:[1,0,1] neg_lo:[0,0,1] neg_hi:[0,0,1]
	v_pk_fma_f32 v[168:169], v[168:169], s[0:1], v[86:87] op_sel_hi:[1,0,1]
	v_mov_b32_e32 v86, v167
	v_mov_b32_e32 v87, v168
	v_pk_add_f32 v[202:203], v[86:87], v[88:89]
	v_pk_mul_f32 v[86:87], v[178:179], s[18:19] op_sel:[1,0] op_sel_hi:[0,0]
	v_pk_fma_f32 v[190:191], v[180:181], s[16:17], v[86:87] op_sel_hi:[1,0,1]
	v_pk_fma_f32 v[192:193], v[180:181], s[16:17], v[86:87] op_sel_hi:[1,0,1] neg_lo:[0,0,1] neg_hi:[0,0,1]
	v_mov_b32_e32 v86, v190
	v_mov_b32_e32 v87, v193
	v_pk_add_f32 v[86:87], v[86:87], v[46:47]
	v_pk_mul_f32 v[46:47], v[178:179], s[26:27] op_sel:[1,0] op_sel_hi:[0,0]
	v_pk_fma_f32 v[186:187], v[180:181], s[0:1], v[46:47] op_sel_hi:[1,0,1]
	v_pk_fma_f32 v[188:189], v[180:181], s[0:1], v[46:47] op_sel_hi:[1,0,1] neg_lo:[0,0,1] neg_hi:[0,0,1]
	;; [unrolled: 6-line block ×3, first 2 shown]
	v_pk_mul_f32 v[46:47], v[178:179], s[30:31] op_sel:[1,0] op_sel_hi:[0,0]
	v_pk_fma_f32 v[178:179], v[180:181], s[20:21], v[46:47] op_sel_hi:[1,0,1] neg_lo:[0,0,1] neg_hi:[0,0,1]
	v_pk_fma_f32 v[180:181], v[180:181], s[20:21], v[46:47] op_sel_hi:[1,0,1]
	v_mov_b32_e32 v46, v179
	v_mov_b32_e32 v47, v180
	v_pk_add_f32 v[90:91], v[46:47], v[202:203]
	v_mov_b32_e32 v46, v194
	v_mov_b32_e32 v47, v197
	v_pk_add_f32 v[46:47], v[46:47], v[200:201]
	s_and_saveexec_b64 s[0:1], s[2:3]
	s_cbranch_execz .LBB0_11
; %bb.10:
	v_pk_add_f32 v[50:51], v[48:49], v[50:51]
	v_mov_b32_e32 v117, v115
	v_pk_add_f32 v[50:51], v[50:51], v[52:53]
	v_mov_b32_e32 v129, v127
	;; [unrolled: 2-line block ×8, first 2 shown]
	v_pk_add_f32 v[44:45], v[50:51], v[44:45]
	v_pk_add_f32 v[50:51], v[48:49], v[116:117]
	;; [unrolled: 1-line block ×4, first 2 shown]
	v_mov_b32_e32 v157, v155
	v_pk_add_f32 v[50:51], v[132:133], v[50:51]
	v_mov_b32_e32 v105, v103
	v_pk_add_f32 v[50:51], v[136:137], v[50:51]
	v_mov_b32_e32 v173, v171
	v_pk_add_f32 v[50:51], v[148:149], v[50:51]
	ds_write2_b64 v60, v[44:45], v[50:51] offset1:147
	v_pk_add_f32 v[44:45], v[48:49], v[112:113]
	v_pk_add_f32 v[50:51], v[48:49], v[140:141]
	;; [unrolled: 1-line block ×5, first 2 shown]
	v_mov_b32_e32 v101, v99
	v_pk_add_f32 v[50:51], v[172:173], v[50:51]
	v_mov_b32_e32 v185, v183
	v_pk_add_f32 v[44:45], v[100:101], v[44:45]
	v_mov_b32_e32 v197, v195
	v_pk_add_f32 v[50:51], v[184:185], v[50:51]
	v_mov_b32_e32 v193, v191
	v_pk_add_f32 v[44:45], v[196:197], v[44:45]
	v_pk_add_f32 v[50:51], v[192:193], v[50:51]
	v_add_u32_e32 v15, 0x800, v60
	v_mov_b32_e32 v125, v123
	v_mov_b32_e32 v119, v121
	ds_write2_b64 v15, v[44:45], v[50:51] offset0:38 offset1:185
	v_pk_add_f32 v[44:45], v[48:49], v[124:125]
	v_mov_b32_e32 v153, v151
	v_pk_add_f32 v[48:49], v[48:49], v[118:119]
	v_mov_b32_e32 v143, v145
	;; [unrolled: 2-line block ×8, first 2 shown]
	v_pk_add_f32 v[44:45], v[188:189], v[44:45]
	v_pk_add_f32 v[48:49], v[178:179], v[48:49]
	v_add_u32_e32 v15, 0x1000, v60
	ds_write2_b64 v15, v[44:45], v[48:49] offset0:76 offset1:223
	v_mov_b32_e32 v44, v91
	v_mov_b32_e32 v45, v90
	v_add_u32_e32 v15, 0x1a00, v60
	ds_write2_b64 v15, v[44:45], v[88:89] offset0:50 offset1:197
	v_add_u32_e32 v15, 0x2400, v60
	ds_write2_b64 v15, v[86:87], v[46:47] offset0:24 offset1:171
	ds_write_b64 v60, v[82:83] offset:11760
.LBB0_11:
	s_or_b64 exec, exec, s[0:1]
	v_lshlrev_b32_e32 v44, 3, v64
	v_mov_b32_e32 v45, 0
	v_lshl_add_u64 v[48:49], s[14:15], 0, v[44:45]
	v_add_co_u32_e32 v50, vcc, 0x3000, v48
	s_waitcnt lgkmcnt(0)
	s_nop 0
	v_addc_co_u32_e32 v51, vcc, 0, v49, vcc
	s_barrier
	global_load_dwordx2 v[52:53], v[50:51], off offset:648
	v_add_co_u32_e32 v50, vcc, 0x4000, v48
	s_mov_b64 s[0:1], 0x3288
	s_nop 0
	v_addc_co_u32_e32 v51, vcc, 0, v49, vcc
	v_lshl_add_u64 v[44:45], v[48:49], 0, s[0:1]
	global_load_dwordx2 v[58:59], v[50:51], off offset:864
	global_load_dwordx2 v[84:85], v[50:51], off offset:2712
	;; [unrolled: 1-line block ×3, first 2 shown]
	v_add_co_u32_e32 v48, vcc, 0x5000, v48
	v_add_u32_e32 v15, 0x1080, v60
	s_nop 0
	v_addc_co_u32_e32 v49, vcc, 0, v49, vcc
	global_load_dwordx2 v[98:99], v[48:49], off offset:1080
	global_load_dwordx2 v[100:101], v[48:49], off offset:2928
	ds_read2_b64 v[48:51], v60 offset1:231
	v_add_u32_e32 v56, 0x2100, v60
	s_waitcnt vmcnt(5) lgkmcnt(0)
	v_mul_f32_e32 v54, v49, v53
	v_mul_f32_e32 v55, v48, v53
	v_fma_f32 v54, v48, v52, -v54
	v_fmac_f32_e32 v55, v49, v52
	ds_write_b64 v60, v[54:55]
	ds_read2_b64 v[52:55], v15 offset0:11 offset1:242
	ds_read2_b64 v[92:95], v56 offset0:22 offset1:253
	s_waitcnt vmcnt(2)
	v_mul_f32_e32 v48, v51, v97
	v_mul_f32_e32 v49, v50, v97
	v_fma_f32 v48, v50, v96, -v48
	v_fmac_f32_e32 v49, v51, v96
	ds_write_b64 v60, v[48:49] offset:1848
	s_waitcnt lgkmcnt(2)
	v_mul_f32_e32 v48, v53, v59
	v_mul_f32_e32 v49, v52, v59
	;; [unrolled: 1-line block ×4, first 2 shown]
	s_waitcnt vmcnt(1) lgkmcnt(1)
	v_mul_f32_e32 v50, v93, v99
	v_mul_f32_e32 v51, v92, v99
	s_waitcnt vmcnt(0)
	v_mul_f32_e32 v81, v95, v101
	v_mul_f32_e32 v85, v94, v101
	v_fma_f32 v48, v52, v58, -v48
	v_fmac_f32_e32 v49, v53, v58
	v_fma_f32 v58, v54, v84, -v57
	v_fmac_f32_e32 v59, v55, v84
	;; [unrolled: 2-line block ×4, first 2 shown]
	ds_write2_b64 v15, v[48:49], v[58:59] offset0:11 offset1:242
	ds_write2_b64 v56, v[50:51], v[84:85] offset0:22 offset1:253
	s_and_saveexec_b64 s[0:1], s[6:7]
	s_cbranch_execz .LBB0_13
; %bb.12:
	v_add_co_u32_e32 v50, vcc, 0x1000, v44
	global_load_dwordx2 v[48:49], v[44:45], off offset:3696
	s_nop 0
	v_addc_co_u32_e32 v51, vcc, 0, v45, vcc
	v_add_co_u32_e32 v44, vcc, 0x3000, v44
	global_load_dwordx2 v[50:51], v[50:51], off offset:3912
	s_nop 0
	v_addc_co_u32_e32 v45, vcc, 0, v45, vcc
	global_load_dwordx2 v[44:45], v[44:45], off offset:32
	ds_read_b64 v[52:53], v60 offset:3696
	ds_read_b64 v[54:55], v60 offset:8008
	;; [unrolled: 1-line block ×3, first 2 shown]
	s_waitcnt vmcnt(2) lgkmcnt(2)
	v_mul_f32_e32 v57, v53, v49
	v_mul_f32_e32 v85, v52, v49
	v_fma_f32 v84, v52, v48, -v57
	v_fmac_f32_e32 v85, v53, v48
	ds_write_b64 v60, v[84:85] offset:3696
	s_waitcnt vmcnt(1) lgkmcnt(2)
	v_mul_f32_e32 v48, v55, v51
	v_mul_f32_e32 v49, v54, v51
	v_fma_f32 v48, v54, v50, -v48
	v_fmac_f32_e32 v49, v55, v50
	s_waitcnt vmcnt(0) lgkmcnt(1)
	v_mul_f32_e32 v50, v59, v45
	v_mul_f32_e32 v51, v58, v45
	v_fma_f32 v50, v58, v44, -v50
	v_fmac_f32_e32 v51, v59, v44
	ds_write_b64 v60, v[48:49] offset:8008
	ds_write_b64 v60, v[50:51] offset:12320
.LBB0_13:
	s_or_b64 exec, exec, s[0:1]
	s_waitcnt lgkmcnt(0)
	s_barrier
	ds_read2_b64 v[48:51], v60 offset1:231
	ds_read2_b64 v[52:55], v15 offset0:11 offset1:242
	ds_read2_b64 v[56:59], v56 offset0:22 offset1:253
	s_and_saveexec_b64 s[0:1], s[6:7]
	s_cbranch_execz .LBB0_15
; %bb.14:
	ds_read_b64 v[44:45], v60 offset:3696
	ds_read_b64 v[88:89], v60 offset:8008
	;; [unrolled: 1-line block ×3, first 2 shown]
	s_waitcnt lgkmcnt(2)
	v_mov_b32_e32 v90, v45
	v_mov_b32_e32 v91, v44
.LBB0_15:
	s_or_b64 exec, exec, s[0:1]
	s_waitcnt lgkmcnt(0)
	v_pk_add_f32 v[44:45], v[88:89], v[86:87]
	v_pk_add_f32 v[98:99], v[88:89], v[86:87] neg_lo:[0,1] neg_hi:[0,1]
	v_pk_mul_f32 v[44:45], v[44:45], 0.5 op_sel_hi:[1,0]
	s_mov_b32 s0, 0x3f5db3d7
	v_pk_add_f32 v[44:45], v[90:91], v[44:45] op_sel:[0,1] op_sel_hi:[1,0] neg_lo:[0,1] neg_hi:[0,1]
	v_pk_add_f32 v[94:95], v[48:49], v[52:53]
	v_pk_fma_f32 v[84:85], v[98:99], s[0:1], v[44:45] op_sel_hi:[1,0,1]
	v_pk_fma_f32 v[44:45], v[98:99], s[0:1], v[44:45] op_sel_hi:[1,0,1] neg_lo:[1,0,0] neg_hi:[1,0,0]
	v_pk_add_f32 v[98:99], v[52:53], v[56:57]
	v_pk_add_f32 v[52:53], v[52:53], v[56:57] neg_lo:[0,1] neg_hi:[0,1]
	v_pk_fma_f32 v[48:49], v[98:99], 0.5, v[48:49] op_sel_hi:[1,0,1] neg_lo:[1,0,0] neg_hi:[1,0,0]
	v_pk_mul_f32 v[52:53], v[52:53], s[0:1] op_sel_hi:[1,0]
	v_pk_add_f32 v[94:95], v[94:95], v[56:57]
	v_pk_add_f32 v[56:57], v[48:49], v[52:53] op_sel:[0,1] op_sel_hi:[1,0] neg_lo:[0,1] neg_hi:[0,1]
	v_pk_add_f32 v[48:49], v[48:49], v[52:53] op_sel:[0,1] op_sel_hi:[1,0]
	v_mov_b32_e32 v52, v56
	v_mov_b32_e32 v53, v49
	s_barrier
	ds_write2_b64 v65, v[94:95], v[52:53] offset1:1
	v_pk_add_f32 v[52:53], v[54:55], v[58:59]
	v_pk_add_f32 v[96:97], v[50:51], v[54:55]
	v_pk_fma_f32 v[50:51], v[52:53], 0.5, v[50:51] op_sel_hi:[1,0,1] neg_lo:[1,0,0] neg_hi:[1,0,0]
	v_pk_add_f32 v[52:53], v[54:55], v[58:59] neg_lo:[0,1] neg_hi:[0,1]
	v_mov_b32_e32 v49, v57
	v_pk_mul_f32 v[52:53], v[52:53], s[0:1] op_sel_hi:[1,0]
	v_mov_b32_e32 v92, v20
	v_pk_add_f32 v[54:55], v[50:51], v[52:53] op_sel:[0,1] op_sel_hi:[1,0] neg_lo:[0,1] neg_hi:[0,1]
	v_pk_add_f32 v[50:51], v[50:51], v[52:53] op_sel:[0,1] op_sel_hi:[1,0]
	v_mov_b32_e32 v93, v20
	v_mov_b32_e32 v20, v21
	;; [unrolled: 1-line block ×4, first 2 shown]
	ds_write_b64 v65, v[48:49] offset:16
	v_pk_add_f32 v[48:49], v[96:97], v[58:59]
	v_mov_b32_e32 v52, v54
	v_mov_b32_e32 v53, v51
	;; [unrolled: 1-line block ×3, first 2 shown]
	ds_write2_b64 v67, v[48:49], v[52:53] offset1:1
	ds_write_b64 v67, v[50:51] offset:16
	s_and_saveexec_b64 s[0:1], s[6:7]
	s_cbranch_execz .LBB0_17
; %bb.16:
	v_pk_add_f32 v[48:49], v[90:91], v[88:89] op_sel:[1,0] op_sel_hi:[0,1]
	v_lshlrev_b32_e32 v52, 3, v198
	v_pk_add_f32 v[48:49], v[48:49], v[86:87]
	v_mov_b32_e32 v50, v45
	v_mov_b32_e32 v51, v84
	ds_write2_b64 v52, v[48:49], v[50:51] offset1:1
	v_mov_b32_e32 v48, v85
	v_mov_b32_e32 v49, v44
	ds_write_b64 v52, v[48:49] offset:16
.LBB0_17:
	s_or_b64 exec, exec, s[0:1]
	v_add_u32_e32 v65, 0xe00, v60
	s_waitcnt lgkmcnt(0)
	s_barrier
	ds_read2_b64 v[48:51], v65 offset0:14 offset1:245
	ds_read2_b64 v[52:55], v60 offset1:231
	v_add_u32_e32 v67, 0x1c80, v60
	ds_read2_b64 v[56:59], v67 offset0:12 offset1:243
	ds_read_b64 v[86:87], v60 offset:11088
	v_mov_b32_e32 v90, v9
	s_waitcnt lgkmcnt(3)
	v_pk_mul_f32 v[94:95], v[8:9], v[50:51] op_sel:[0,1] op_sel_hi:[1,0]
	v_pk_mul_f32 v[88:89], v[8:9], v[50:51]
	v_mov_b32_e32 v94, v95
	s_waitcnt lgkmcnt(1)
	v_pk_mul_f32 v[96:97], v[10:11], v[56:57] op_sel:[0,1] op_sel_hi:[1,0]
	v_pk_fma_f32 v[8:9], v[8:9], v[50:51], v[94:95] op_sel:[0,1,0] op_sel_hi:[1,0,1] neg_lo:[0,0,1] neg_hi:[0,0,1]
	v_mov_b32_e32 v94, v11
	v_mov_b32_e32 v96, v97
	v_pk_mul_f32 v[90:91], v[90:91], v[50:51] op_sel:[0,1] op_sel_hi:[1,0]
	v_pk_mul_f32 v[50:51], v[10:11], v[56:57]
	v_pk_mul_f32 v[94:95], v[94:95], v[56:57] op_sel:[0,1] op_sel_hi:[1,0]
	v_pk_fma_f32 v[10:11], v[10:11], v[56:57], v[96:97] op_sel:[0,1,0] op_sel_hi:[1,0,1] neg_lo:[0,0,1] neg_hi:[0,0,1]
	v_mov_b32_e32 v56, v55
	v_pk_mul_f32 v[96:97], v[4:5], v[54:55] op_sel_hi:[1,0]
	s_mov_b32 s0, 0x3f08b237
	v_pk_fma_f32 v[56:57], v[4:5], v[56:57], v[96:97] op_sel:[0,0,1] op_sel_hi:[1,1,0] neg_lo:[0,0,1] neg_hi:[0,0,1]
	v_pk_fma_f32 v[4:5], v[4:5], v[54:55], v[96:97] op_sel:[0,1,1] op_sel_hi:[1,1,0]
	v_pk_mul_f32 v[54:55], v[6:7], v[48:49] op_sel_hi:[1,0]
	v_mov_b32_e32 v4, v49
	v_mov_b32_e32 v57, v5
	v_pk_fma_f32 v[4:5], v[6:7], v[4:5], v[54:55] op_sel:[0,0,1] op_sel_hi:[1,1,0] neg_lo:[0,0,1] neg_hi:[0,0,1]
	v_pk_fma_f32 v[6:7], v[6:7], v[48:49], v[54:55] op_sel:[0,1,1] op_sel_hi:[1,1,0]
	v_pk_mul_f32 v[48:49], v[0:1], v[58:59] op_sel_hi:[1,0]
	v_mov_b32_e32 v6, v59
	v_mov_b32_e32 v5, v7
	v_pk_fma_f32 v[6:7], v[0:1], v[6:7], v[48:49] op_sel:[0,0,1] op_sel_hi:[1,1,0] neg_lo:[0,0,1] neg_hi:[0,0,1]
	v_pk_fma_f32 v[0:1], v[0:1], v[58:59], v[48:49] op_sel:[0,1,1] op_sel_hi:[1,1,0]
	s_waitcnt lgkmcnt(0)
	v_pk_mul_f32 v[48:49], v[2:3], v[86:87] op_sel_hi:[1,0]
	v_mov_b32_e32 v0, v87
	v_mov_b32_e32 v7, v1
	v_pk_fma_f32 v[0:1], v[2:3], v[0:1], v[48:49] op_sel:[0,0,1] op_sel_hi:[1,1,0] neg_lo:[0,0,1] neg_hi:[0,0,1]
	v_pk_fma_f32 v[2:3], v[2:3], v[86:87], v[48:49] op_sel:[0,1,1] op_sel_hi:[1,1,0]
	v_mov_b32_e32 v51, v56
	v_mov_b32_e32 v1, v3
	;; [unrolled: 1-line block ×5, first 2 shown]
	v_pk_add_f32 v[2:3], v[56:57], v[0:1]
	v_pk_add_f32 v[48:49], v[56:57], v[0:1] neg_lo:[0,1] neg_hi:[0,1]
	v_pk_add_f32 v[54:55], v[4:5], v[6:7]
	v_pk_add_f32 v[58:59], v[4:5], v[6:7] neg_lo:[0,1] neg_hi:[0,1]
	v_pk_add_f32 v[0:1], v[50:51], v[94:95]
	v_pk_add_f32 v[4:5], v[88:89], v[90:91]
	v_mov_b32_e32 v11, v0
	v_mov_b32_e32 v9, v4
	v_pk_add_f32 v[6:7], v[10:11], v[8:9] neg_lo:[0,1] neg_hi:[0,1]
	v_mov_b32_e32 v88, v55
	v_mov_b32_e32 v89, v8
	;; [unrolled: 1-line block ×4, first 2 shown]
	v_pk_add_f32 v[8:9], v[88:89], v[8:9]
	v_pk_add_f32 v[10:11], v[4:5], v[0:1]
	v_mov_b32_e32 v50, v6
	v_mov_b32_e32 v51, v49
	;; [unrolled: 1-line block ×6, first 2 shown]
	v_pk_add_f32 v[50:51], v[50:51], v[56:57] neg_lo:[0,1] neg_hi:[0,1]
	s_mov_b32 s1, 0xbeae86e6
	v_mov_b32_e32 v56, v48
	v_mov_b32_e32 v86, v6
	v_mov_b32_e32 v87, v59
	v_pk_add_f32 v[88:89], v[0:1], v[88:89] neg_lo:[0,1] neg_hi:[0,1]
	v_mov_b32_e32 v90, v3
	v_mov_b32_e32 v91, v9
	;; [unrolled: 1-line block ×3, first 2 shown]
	v_pk_add_f32 v[8:9], v[8:9], v[10:11]
	s_mov_b32 s19, 0x3f4a47b2
	s_mov_b32 s18, 0x3d64c772
	v_pk_mul_f32 v[50:51], v[50:51], s[0:1]
	v_pk_add_f32 v[56:57], v[56:57], v[86:87] neg_lo:[0,1] neg_hi:[0,1]
	s_mov_b32 s16, s1
	s_mov_b32 s17, s0
	v_pk_add_f32 v[6:7], v[6:7], v[58:59]
	v_pk_add_f32 v[90:91], v[90:91], v[4:5] neg_lo:[0,1] neg_hi:[0,1]
	v_pk_add_f32 v[10:11], v[52:53], v[8:9]
	s_mov_b32 s20, 0xbf955555
	v_pk_mul_f32 v[52:53], v[88:89], s[18:19]
	s_mov_b32 s22, s19
	s_mov_b32 s23, s18
	v_pk_mul_f32 v[86:87], v[56:57], s[16:17]
	v_pk_add_f32 v[6:7], v[6:7], v[48:49]
	s_mov_b32 s14, 0xbee1c552
	v_pk_mul_f32 v[88:89], v[90:91], s[22:23]
	v_pk_fma_f32 v[8:9], v[8:9], s[20:21], v[10:11] op_sel_hi:[1,0,1]
	v_pk_fma_f32 v[90:91], v[90:91], s[22:23], v[52:53]
	v_pk_fma_f32 v[56:57], v[56:57], s[16:17], v[50:51]
	v_pk_add_f32 v[90:91], v[90:91], v[8:9]
	v_pk_fma_f32 v[56:57], v[6:7], s[14:15], v[56:57] op_sel_hi:[1,0,1]
	v_mov_b32_e32 v4, v55
	v_pk_add_f32 v[94:95], v[90:91], v[56:57]
	v_pk_add_f32 v[56:57], v[90:91], v[56:57] neg_lo:[0,1] neg_hi:[0,1]
	v_mov_b32_e32 v90, v94
	v_mov_b32_e32 v91, v57
	;; [unrolled: 1-line block ×3, first 2 shown]
	s_barrier
	ds_write2_b64 v61, v[10:11], v[90:91] offset1:3
	v_pk_add_f32 v[10:11], v[58:59], v[48:49] neg_lo:[0,1] neg_hi:[0,1]
	s_mov_b32 s22, 0xbf5ff5aa
	v_pk_add_f32 v[0:1], v[4:5], v[0:1] neg_lo:[0,1] neg_hi:[0,1]
	s_mov_b32 s20, 0x3f3bfb3b
	v_mov_b32_e32 v2, v88
	v_mov_b32_e32 v3, v53
	v_mov_b32_e32 v4, v86
	v_mov_b32_e32 v5, v51
	v_mov_b32_e32 v53, v89
	v_mov_b32_e32 v51, v87
	v_pk_fma_f32 v[2:3], v[0:1], s[20:21], v[2:3] op_sel_hi:[1,0,1] neg_lo:[1,0,1] neg_hi:[1,0,1]
	v_pk_fma_f32 v[4:5], v[10:11], s[22:23], v[4:5] op_sel_hi:[1,0,1] neg_lo:[1,0,1] neg_hi:[1,0,1]
	;; [unrolled: 1-line block ×4, first 2 shown]
	v_pk_add_f32 v[2:3], v[2:3], v[8:9]
	v_pk_fma_f32 v[4:5], v[6:7], s[14:15], v[4:5] op_sel_hi:[1,0,1]
	v_pk_add_f32 v[0:1], v[0:1], v[8:9]
	v_pk_fma_f32 v[6:7], v[6:7], s[14:15], v[10:11] op_sel_hi:[1,0,1]
	v_pk_add_f32 v[48:49], v[2:3], v[4:5]
	v_pk_add_f32 v[2:3], v[2:3], v[4:5] neg_lo:[0,1] neg_hi:[0,1]
	v_pk_add_f32 v[8:9], v[0:1], v[6:7] neg_lo:[0,1] neg_hi:[0,1]
	v_pk_add_f32 v[0:1], v[0:1], v[6:7]
	v_mov_b32_e32 v4, v48
	v_mov_b32_e32 v5, v3
	v_mov_b32_e32 v6, v8
	v_mov_b32_e32 v7, v1
	v_mov_b32_e32 v1, v9
	v_mov_b32_e32 v3, v49
	v_mov_b32_e32 v57, v95
	ds_write2_b64 v61, v[4:5], v[6:7] offset0:6 offset1:9
	ds_write2_b64 v61, v[0:1], v[2:3] offset0:12 offset1:15
	ds_write_b64 v61, v[56:57] offset:144
	s_waitcnt lgkmcnt(0)
	s_barrier
	ds_read2_b64 v[0:3], v60 offset1:231
	ds_read2_b64 v[4:7], v65 offset0:14 offset1:245
	ds_read2_b64 v[8:11], v67 offset0:12 offset1:243
	ds_read_b64 v[48:49], v60 offset:11088
	s_mov_b32 s22, 0x3f955555
	s_waitcnt lgkmcnt(3)
	v_pk_mul_f32 v[20:21], v[20:21], v[2:3]
	s_mov_b32 s21, s22
	v_pk_fma_f32 v[50:51], v[92:93], v[2:3], v[20:21] op_sel:[0,0,1] op_sel_hi:[1,1,0]
	v_pk_fma_f32 v[2:3], v[92:93], v[2:3], v[20:21] op_sel:[0,0,1] op_sel_hi:[1,1,0] neg_lo:[0,0,1] neg_hi:[0,0,1]
	s_mov_b32 s19, s20
	v_mov_b32_e32 v51, v3
	s_waitcnt lgkmcnt(2)
	v_pk_mul_f32 v[2:3], v[22:23], v[4:5] op_sel:[1,0]
	s_waitcnt lgkmcnt(0)
	v_pk_fma_f32 v[20:21], v[22:23], v[4:5], v[2:3] op_sel:[0,0,1] op_sel_hi:[1,1,0]
	v_pk_fma_f32 v[2:3], v[22:23], v[4:5], v[2:3] op_sel:[0,0,1] op_sel_hi:[0,1,0] neg_lo:[0,0,1] neg_hi:[0,0,1]
	v_mov_b32_e32 v2, v17
	v_pk_mul_f32 v[4:5], v[2:3], v[6:7] op_sel_hi:[0,1]
	v_mov_b32_e32 v2, v19
	v_pk_fma_f32 v[22:23], v[16:17], v[6:7], v[4:5] op_sel:[0,0,1] op_sel_hi:[1,1,0]
	v_pk_fma_f32 v[4:5], v[16:17], v[6:7], v[4:5] op_sel:[0,0,1] op_sel_hi:[0,1,0] neg_lo:[0,0,1] neg_hi:[0,0,1]
	v_pk_mul_f32 v[6:7], v[2:3], v[8:9] op_sel_hi:[0,1]
	v_pk_fma_f32 v[16:17], v[18:19], v[8:9], v[6:7] op_sel:[0,0,1] op_sel_hi:[0,1,0]
	v_pk_fma_f32 v[6:7], v[18:19], v[8:9], v[6:7] op_sel:[0,0,1] op_sel_hi:[0,1,0] neg_lo:[0,0,1] neg_hi:[0,0,1]
	v_pk_mul_f32 v[8:9], v[12:13], v[10:11] op_sel:[1,0]
	v_mov_b32_e32 v23, v5
	v_pk_fma_f32 v[18:19], v[12:13], v[10:11], v[8:9] op_sel:[0,0,1] op_sel_hi:[1,1,0]
	v_pk_fma_f32 v[8:9], v[12:13], v[10:11], v[8:9] op_sel:[0,0,1] op_sel_hi:[0,1,0] neg_lo:[0,0,1] neg_hi:[0,0,1]
	v_pk_mul_f32 v[10:11], v[80:81], v[48:49]
	v_mov_b32_e32 v17, v7
	v_pk_fma_f32 v[12:13], v[14:15], v[48:49], v[10:11] op_sel:[0,0,1] op_sel_hi:[1,1,0]
	v_pk_fma_f32 v[10:11], v[14:15], v[48:49], v[10:11] op_sel:[0,0,1] op_sel_hi:[1,1,0] neg_lo:[0,0,1] neg_hi:[0,0,1]
	v_mov_b32_e32 v4, v5
	v_mov_b32_e32 v13, v11
	;; [unrolled: 1-line block ×5, first 2 shown]
	v_pk_add_f32 v[10:11], v[50:51], v[12:13]
	v_pk_add_f32 v[4:5], v[4:5], v[6:7]
	v_mov_b32_e32 v21, v3
	v_mov_b32_e32 v19, v9
	;; [unrolled: 1-line block ×6, first 2 shown]
	v_pk_add_f32 v[2:3], v[2:3], v[8:9]
	v_pk_add_f32 v[12:13], v[50:51], v[12:13] neg_lo:[0,1] neg_hi:[0,1]
	v_pk_add_f32 v[14:15], v[20:21], v[18:19] neg_lo:[0,1] neg_hi:[0,1]
	;; [unrolled: 1-line block ×3, first 2 shown]
	v_mov_b32_e32 v8, v2
	v_mov_b32_e32 v9, v22
	;; [unrolled: 1-line block ×4, first 2 shown]
	v_pk_add_f32 v[8:9], v[8:9], v[18:19]
	v_pk_add_f32 v[16:17], v[6:7], v[14:15]
	v_mov_b32_e32 v20, v12
	v_mov_b32_e32 v21, v7
	v_mov_b32_e32 v22, v6
	v_mov_b32_e32 v23, v15
	v_pk_add_f32 v[20:21], v[20:21], v[22:23] neg_lo:[0,1] neg_hi:[0,1]
	v_pk_add_f32 v[22:23], v[14:15], v[12:13] neg_lo:[0,1] neg_hi:[0,1]
	;; [unrolled: 1-line block ×3, first 2 shown]
	v_pk_add_f32 v[48:49], v[2:3], v[8:9]
	v_pk_add_f32 v[16:17], v[16:17], v[12:13]
	v_mov_b32_e32 v3, v10
	v_mov_b32_e32 v12, v6
	;; [unrolled: 1-line block ×3, first 2 shown]
	v_sub_f32_e32 v52, v10, v9
	v_sub_f32_e32 v53, v11, v4
	v_pk_add_f32 v[50:51], v[8:9], v[4:5]
	v_pk_add_f32 v[8:9], v[8:9], v[4:5] neg_lo:[0,1] neg_hi:[0,1]
	v_pk_add_f32 v[2:3], v[4:5], v[2:3] neg_lo:[0,1] neg_hi:[0,1]
	;; [unrolled: 1-line block ×3, first 2 shown]
	v_mov_b32_e32 v19, v49
	v_mov_b32_e32 v51, v9
	v_pk_mul_f32 v[8:9], v[8:9], s[22:23]
	v_pk_mul_f32 v[58:59], v[20:21], s[16:17]
	;; [unrolled: 1-line block ×3, first 2 shown]
	v_mul_f32_e32 v11, 0x3f4a47b2, v52
	v_pk_mul_f32 v[54:55], v[18:19], s[20:21]
	v_mov_b32_e32 v8, v59
	v_mov_b32_e32 v10, v13
	v_xor_b32_e32 v55, 0x80000000, v11
	v_pk_add_f32 v[8:9], v[8:9], v[10:11]
	v_mov_b32_e32 v10, v49
	v_mov_b32_e32 v11, v50
	v_mul_f32_e32 v53, 0x3f4a47b2, v53
	v_pk_mul_f32 v[6:7], v[2:3], s[18:19]
	v_pk_add_f32 v[0:1], v[0:1], v[10:11]
	v_xor_b32_e32 v48, 0x80000000, v53
	v_mov_b32_e32 v15, v6
	v_mov_b32_e32 v49, v0
	;; [unrolled: 1-line block ×3, first 2 shown]
	v_mul_f32_e32 v22, 0xbf5ff5aa, v22
	v_pk_fma_f32 v[10:11], v[18:19], s[20:21], v[48:49] neg_lo:[1,0,0] neg_hi:[1,0,0]
	v_pk_fma_f32 v[6:7], v[50:51], s[22:23], v[6:7] neg_lo:[1,0,0] neg_hi:[1,0,0]
	v_pk_mul_f32 v[56:57], v[16:17], s[14:15] op_sel_hi:[1,0]
	v_mul_f32_e32 v81, 0xbf5ff5aa, v23
	v_xor_b32_e32 v80, 0x80000000, v22
	v_pk_fma_f32 v[2:3], v[2:3], s[18:19], v[54:55] neg_lo:[1,0,0] neg_hi:[1,0,0]
	v_mov_b32_e32 v14, v12
	v_mov_b32_e32 v52, v58
	;; [unrolled: 1-line block ×4, first 2 shown]
	v_xor_b32_e32 v23, 0x80000000, v81
	v_pk_fma_f32 v[20:21], v[20:21], s[16:17], v[80:81] neg_lo:[1,0,0] neg_hi:[1,0,0]
	v_pk_add_f32 v[14:15], v[14:15], v[52:53]
	v_pk_add_f32 v[18:19], v[2:3], v[12:13]
	v_mov_b32_e32 v2, v56
	v_mov_b32_e32 v3, v6
	v_pk_fma_f32 v[20:21], v[16:17], s[14:15], v[20:21] op_sel_hi:[1,0,1]
	v_pk_fma_f32 v[4:5], v[4:5], s[0:1], v[22:23] neg_lo:[1,0,0] neg_hi:[1,0,0]
	v_pk_add_f32 v[22:23], v[6:7], v[10:11]
	v_pk_add_f32 v[14:15], v[2:3], v[14:15]
	v_mov_b32_e32 v10, v57
	v_pk_fma_f32 v[4:5], v[16:17], s[14:15], v[4:5] op_sel_hi:[1,0,1]
	v_pk_add_f32 v[48:49], v[10:11], v[8:9]
	v_mov_b32_e32 v6, v22
	v_mov_b32_e32 v7, v15
	;; [unrolled: 1-line block ×7, first 2 shown]
	v_pk_add_f32 v[10:11], v[6:7], v[8:9] neg_lo:[0,1] neg_hi:[0,1]
	v_mov_b32_e32 v6, v18
	v_mov_b32_e32 v7, v23
	v_pk_add_f32 v[2:3], v[48:49], v[2:3]
	v_pk_add_f32 v[12:13], v[4:5], v[18:19]
	v_pk_add_f32 v[8:9], v[6:7], v[16:17] neg_lo:[0,1] neg_hi:[0,1]
	v_mov_b32_e32 v18, v49
	v_mov_b32_e32 v49, v5
	;; [unrolled: 1-line block ×3, first 2 shown]
	v_pk_add_f32 v[6:7], v[20:21], v[22:23]
	v_pk_add_f32 v[4:5], v[18:19], v[48:49] neg_lo:[0,1] neg_hi:[0,1]
	v_pk_add_f32 v[14:15], v[14:15], v[16:17]
	v_mov_b32_e32 v16, v13
	v_mov_b32_e32 v17, v10
	v_mov_b32_e32 v18, v9
	v_mov_b32_e32 v19, v12
	s_barrier
	ds_write2_b64 v199, v[16:17], v[18:19] offset0:42 offset1:63
	v_mov_b32_e32 v16, v7
	v_mov_b32_e32 v17, v8
	;; [unrolled: 1-line block ×5, first 2 shown]
	ds_write2_b64 v199, v[16:17], v[18:19] offset0:84 offset1:105
	v_mov_b32_e32 v16, v4
	v_mov_b32_e32 v17, v14
	ds_write2_b64 v199, v[0:1], v[2:3] offset1:21
	ds_write_b64 v199, v[16:17] offset:1008
	s_waitcnt lgkmcnt(0)
	s_barrier
	s_and_saveexec_b64 s[0:1], s[4:5]
	s_xor_b64 s[0:1], exec, s[0:1]
	s_andn2_saveexec_b64 s[0:1], s[0:1]
	s_cbranch_execz .LBB0_19
; %bb.18:
	v_add_u32_e32 v4, 0x800, v60
	ds_read2_b64 v[14:17], v4 offset0:38 offset1:185
	v_add_u32_e32 v4, 0x1a00, v60
	ds_read2_b64 v[18:21], v4 offset0:50 offset1:197
	v_add_u32_e32 v4, 0x2400, v60
	ds_read2_b64 v[0:3], v60 offset1:147
	ds_read2_b64 v[44:47], v4 offset0:24 offset1:171
	v_add_u32_e32 v4, 0x1000, v60
	ds_read2_b64 v[8:11], v4 offset0:76 offset1:223
	ds_read_b64 v[82:83], v60 offset:11760
	s_waitcnt lgkmcnt(4)
	v_mov_b32_e32 v84, v21
	v_mov_b32_e32 v12, v17
	s_waitcnt lgkmcnt(2)
	v_mov_b32_e32 v85, v44
	v_mov_b32_e32 v44, v45
	;; [unrolled: 1-line block ×3, first 2 shown]
	s_waitcnt lgkmcnt(1)
	v_mov_b32_e32 v6, v11
	v_mov_b32_e32 v7, v8
	;; [unrolled: 1-line block ×10, first 2 shown]
.LBB0_19:
	s_or_b64 exec, exec, s[0:1]
	s_and_saveexec_b64 s[0:1], s[2:3]
	s_cbranch_execz .LBB0_21
; %bb.20:
	s_waitcnt lgkmcnt(0)
	v_pk_mul_f32 v[16:17], v[42:43], v[82:83] op_sel:[0,1]
	v_pk_mul_f32 v[22:23], v[26:27], v[12:13] op_sel:[0,1]
	v_pk_fma_f32 v[56:57], v[42:43], v[82:83], v[16:17] op_sel:[0,0,1] op_sel_hi:[1,1,0]
	v_pk_fma_f32 v[16:17], v[42:43], v[82:83], v[16:17] op_sel:[0,0,1] op_sel_hi:[1,0,0] neg_lo:[1,0,0] neg_hi:[1,0,0]
	v_pk_mul_f32 v[18:19], v[24:25], v[10:11] op_sel:[0,1]
	v_pk_mul_f32 v[20:21], v[40:41], v[46:47] op_sel:[0,1]
	v_mov_b32_e32 v57, v17
	v_pk_fma_f32 v[16:17], v[26:27], v[10:11], v[22:23] op_sel:[1,0,0] op_sel_hi:[0,1,1]
	v_pk_fma_f32 v[10:11], v[26:27], v[10:11], v[22:23] op_sel:[1,0,0] op_sel_hi:[0,0,1] neg_lo:[0,0,1] neg_hi:[0,0,1]
	v_pk_mul_f32 v[12:13], v[36:37], v[12:13] op_sel_hi:[1,0]
	v_mov_b32_e32 v17, v11
	v_pk_fma_f32 v[10:11], v[40:41], v[46:47], v[20:21] op_sel:[0,0,1] op_sel_hi:[1,1,0]
	v_pk_fma_f32 v[20:21], v[40:41], v[46:47], v[20:21] op_sel:[0,0,1] op_sel_hi:[1,0,0] neg_lo:[1,0,0] neg_hi:[1,0,0]
	v_pk_mul_f32 v[48:49], v[34:35], v[44:45] op_sel_hi:[1,0]
	v_pk_mul_f32 v[52:53], v[38:39], v[8:9] op_sel_hi:[1,0]
	v_mov_b32_e32 v11, v21
	v_pk_fma_f32 v[20:21], v[36:37], v[8:9], v[12:13] op_sel:[0,1,1] op_sel_hi:[1,1,0]
	v_pk_fma_f32 v[8:9], v[36:37], v[8:9], v[12:13] op_sel:[0,1,1] op_sel_hi:[1,1,0] neg_lo:[1,0,0] neg_hi:[1,0,0]
	v_pk_fma_f32 v[12:13], v[34:35], v[84:85], v[48:49] op_sel:[0,1,1] op_sel_hi:[1,1,0] neg_lo:[1,0,0] neg_hi:[1,0,0]
	v_mov_b32_e32 v21, v9
	v_pk_fma_f32 v[8:9], v[34:35], v[84:85], v[48:49] op_sel:[0,1,1] op_sel_hi:[1,1,0]
	v_pk_mul_f32 v[50:51], v[32:33], v[84:85] op_sel_hi:[1,0]
	v_pk_mul_f32 v[54:55], v[28:29], v[6:7] op_sel_hi:[1,0]
	v_mov_b32_e32 v9, v13
	v_pk_fma_f32 v[12:13], v[38:39], v[6:7], v[52:53] op_sel:[0,1,1] op_sel_hi:[1,1,0]
	v_pk_fma_f32 v[6:7], v[38:39], v[6:7], v[52:53] op_sel:[0,1,1] op_sel_hi:[1,1,0] neg_lo:[1,0,0] neg_hi:[1,0,0]
	v_pk_fma_f32 v[22:23], v[32:33], v[44:45], v[50:51] op_sel:[0,1,1] op_sel_hi:[1,1,0] neg_lo:[1,0,0] neg_hi:[1,0,0]
	v_mov_b32_e32 v13, v7
	v_pk_fma_f32 v[6:7], v[32:33], v[44:45], v[50:51] op_sel:[0,1,1] op_sel_hi:[1,1,0]
	v_pk_mul_f32 v[14:15], v[30:31], v[14:15] op_sel_hi:[1,0]
	v_mov_b32_e32 v7, v23
	v_pk_fma_f32 v[22:23], v[28:29], v[4:5], v[54:55] op_sel:[0,1,1] op_sel_hi:[1,1,0]
	v_pk_fma_f32 v[26:27], v[28:29], v[4:5], v[54:55] op_sel:[0,1,1] op_sel_hi:[1,1,0] neg_lo:[1,0,0] neg_hi:[1,0,0]
	s_mov_b32 s20, 0xbf0a6770
	v_mov_b32_e32 v23, v27
	v_pk_fma_f32 v[26:27], v[30:31], v[4:5], v[14:15] op_sel:[0,0,1] op_sel_hi:[1,1,0]
	v_pk_fma_f32 v[4:5], v[30:31], v[4:5], v[14:15] op_sel:[0,0,1] op_sel_hi:[1,0,0] neg_lo:[1,0,0] neg_hi:[1,0,0]
	s_mov_b32 s4, 0x3f575c64
	v_mov_b32_e32 v27, v5
	v_pk_fma_f32 v[4:5], v[24:25], v[2:3], v[18:19] op_sel:[0,0,1] op_sel_hi:[1,1,0]
	v_pk_fma_f32 v[2:3], v[24:25], v[2:3], v[18:19] op_sel:[0,0,1] op_sel_hi:[1,0,0] neg_lo:[1,0,0] neg_hi:[1,0,0]
	v_pk_add_f32 v[24:25], v[16:17], v[10:11] neg_lo:[0,1] neg_hi:[0,1]
	v_mov_b32_e32 v5, v3
	v_pk_add_f32 v[14:15], v[4:5], v[56:57] neg_lo:[0,1] neg_hi:[0,1]
	v_pk_add_f32 v[2:3], v[56:57], v[4:5]
	v_pk_mul_f32 v[40:41], v[14:15], s[20:21] op_sel_hi:[1,0]
	s_mov_b32 s28, 0xbf68dda4
	v_pk_add_f32 v[18:19], v[10:11], v[16:17]
	v_pk_fma_f32 v[42:43], v[2:3], s[4:5], v[40:41] op_sel:[0,0,1] op_sel_hi:[1,0,0]
	v_pk_fma_f32 v[40:41], v[2:3], s[4:5], v[40:41] op_sel:[0,0,1] op_sel_hi:[1,0,0] neg_lo:[0,0,1] neg_hi:[0,0,1]
	s_mov_b32 s2, 0x3ed4b147
	v_pk_mul_f32 v[46:47], v[24:25], s[28:29] op_sel_hi:[1,0]
	v_mov_b32_e32 v44, v42
	v_mov_b32_e32 v45, v41
	v_pk_fma_f32 v[48:49], v[18:19], s[2:3], v[46:47] op_sel:[0,0,1] op_sel_hi:[1,0,0]
	v_pk_fma_f32 v[46:47], v[18:19], s[2:3], v[46:47] op_sel:[0,0,1] op_sel_hi:[1,0,0] neg_lo:[0,0,1] neg_hi:[0,0,1]
	v_pk_add_f32 v[30:31], v[20:21], v[8:9] neg_lo:[0,1] neg_hi:[0,1]
	v_pk_add_f32 v[44:45], v[0:1], v[44:45]
	v_mov_b32_e32 v50, v48
	v_mov_b32_e32 v51, v47
	s_mov_b32 s16, 0xbf7d64f0
	v_pk_add_f32 v[28:29], v[8:9], v[20:21]
	v_pk_add_f32 v[44:45], v[50:51], v[44:45]
	s_mov_b32 s14, 0xbe11bafb
	v_pk_mul_f32 v[50:51], v[30:31], s[16:17] op_sel_hi:[1,0]
	v_pk_add_f32 v[4:5], v[0:1], v[4:5]
	v_pk_fma_f32 v[52:53], v[28:29], s[14:15], v[50:51] op_sel:[0,0,1] op_sel_hi:[1,0,0]
	v_pk_fma_f32 v[50:51], v[28:29], s[14:15], v[50:51] op_sel:[0,0,1] op_sel_hi:[1,0,0] neg_lo:[0,0,1] neg_hi:[0,0,1]
	v_pk_add_f32 v[4:5], v[16:17], v[4:5]
	v_pk_add_f32 v[34:35], v[12:13], v[6:7] neg_lo:[0,1] neg_hi:[0,1]
	v_mov_b32_e32 v54, v52
	v_mov_b32_e32 v55, v51
	s_mov_b32 s22, 0xbf4178ce
	v_pk_add_f32 v[4:5], v[20:21], v[4:5]
	v_pk_add_f32 v[32:33], v[6:7], v[12:13]
	;; [unrolled: 1-line block ×3, first 2 shown]
	s_mov_b32 s18, 0xbf27a4f4
	v_pk_mul_f32 v[54:55], v[34:35], s[22:23] op_sel_hi:[1,0]
	v_pk_add_f32 v[4:5], v[12:13], v[4:5]
	v_pk_fma_f32 v[58:59], v[32:33], s[18:19], v[54:55] op_sel:[0,0,1] op_sel_hi:[1,0,0]
	v_pk_fma_f32 v[54:55], v[32:33], s[18:19], v[54:55] op_sel:[0,0,1] op_sel_hi:[1,0,0] neg_lo:[0,0,1] neg_hi:[0,0,1]
	v_pk_add_f32 v[4:5], v[22:23], v[4:5]
	v_pk_add_f32 v[38:39], v[22:23], v[26:27] neg_lo:[0,1] neg_hi:[0,1]
	v_mov_b32_e32 v80, v58
	v_mov_b32_e32 v81, v55
	s_mov_b32 s26, 0xbe903f40
	v_pk_add_f32 v[4:5], v[26:27], v[4:5]
	v_pk_add_f32 v[36:37], v[26:27], v[22:23]
	;; [unrolled: 1-line block ×3, first 2 shown]
	s_mov_b32 s24, 0xbf75a155
	v_pk_mul_f32 v[80:81], v[38:39], s[26:27] op_sel_hi:[1,0]
	v_pk_add_f32 v[4:5], v[6:7], v[4:5]
	v_pk_fma_f32 v[82:83], v[36:37], s[24:25], v[80:81] op_sel:[0,0,1] op_sel_hi:[1,0,0]
	v_pk_fma_f32 v[80:81], v[36:37], s[24:25], v[80:81] op_sel:[0,0,1] op_sel_hi:[1,0,0] neg_lo:[0,0,1] neg_hi:[0,0,1]
	v_pk_add_f32 v[4:5], v[8:9], v[4:5]
	v_mov_b32_e32 v84, v82
	v_mov_b32_e32 v85, v81
	v_pk_add_f32 v[4:5], v[10:11], v[4:5]
	v_pk_add_f32 v[44:45], v[84:85], v[44:45]
	v_pk_add_f32 v[4:5], v[56:57], v[4:5]
	ds_write2_b64 v60, v[4:5], v[44:45] offset1:147
	v_pk_mul_f32 v[4:5], v[14:15], s[28:29] op_sel_hi:[1,0]
	v_pk_mul_f32 v[10:11], v[24:25], s[22:23] op_sel_hi:[1,0]
	v_pk_fma_f32 v[6:7], v[2:3], s[2:3], v[4:5] op_sel:[0,0,1] op_sel_hi:[1,0,0]
	v_pk_fma_f32 v[4:5], v[2:3], s[2:3], v[4:5] op_sel:[0,0,1] op_sel_hi:[1,0,0] neg_lo:[0,0,1] neg_hi:[0,0,1]
	v_mov_b32_e32 v8, v6
	v_mov_b32_e32 v9, v5
	v_pk_fma_f32 v[12:13], v[18:19], s[18:19], v[10:11] op_sel:[0,0,1] op_sel_hi:[1,0,0]
	v_pk_fma_f32 v[10:11], v[18:19], s[18:19], v[10:11] op_sel:[0,0,1] op_sel_hi:[1,0,0] neg_lo:[0,0,1] neg_hi:[0,0,1]
	v_pk_add_f32 v[8:9], v[0:1], v[8:9]
	v_mov_b32_e32 v16, v12
	v_mov_b32_e32 v17, v11
	s_mov_b32 s28, 0x3e903f40
	v_pk_add_f32 v[8:9], v[16:17], v[8:9]
	v_pk_mul_f32 v[16:17], v[30:31], s[28:29] op_sel_hi:[1,0]
	s_mov_b32 s30, 0x3f7d64f0
	v_pk_fma_f32 v[20:21], v[28:29], s[24:25], v[16:17] op_sel:[0,0,1] op_sel_hi:[1,0,0]
	v_pk_fma_f32 v[16:17], v[28:29], s[24:25], v[16:17] op_sel:[0,0,1] op_sel_hi:[1,0,0] neg_lo:[0,0,1] neg_hi:[0,0,1]
	v_mov_b32_e32 v22, v20
	v_mov_b32_e32 v23, v17
	v_pk_add_f32 v[8:9], v[22:23], v[8:9]
	v_pk_mul_f32 v[22:23], v[34:35], s[30:31] op_sel_hi:[1,0]
	s_mov_b32 s34, 0x3f0a6770
	v_pk_fma_f32 v[26:27], v[32:33], s[14:15], v[22:23] op_sel:[0,0,1] op_sel_hi:[1,0,0]
	v_pk_fma_f32 v[22:23], v[32:33], s[14:15], v[22:23] op_sel:[0,0,1] op_sel_hi:[1,0,0] neg_lo:[0,0,1] neg_hi:[0,0,1]
	v_mov_b32_e32 v44, v26
	v_mov_b32_e32 v45, v23
	v_pk_add_f32 v[8:9], v[44:45], v[8:9]
	v_pk_mul_f32 v[44:45], v[38:39], s[34:35] op_sel_hi:[1,0]
	v_pk_mul_f32 v[90:91], v[24:25], s[28:29] op_sel_hi:[1,0]
	v_pk_fma_f32 v[56:57], v[36:37], s[4:5], v[44:45] op_sel:[0,0,1] op_sel_hi:[1,0,0]
	v_pk_fma_f32 v[44:45], v[36:37], s[4:5], v[44:45] op_sel:[0,0,1] op_sel_hi:[1,0,0] neg_lo:[0,0,1] neg_hi:[0,0,1]
	v_mov_b32_e32 v84, v56
	v_mov_b32_e32 v85, v45
	v_pk_add_f32 v[8:9], v[84:85], v[8:9]
	v_pk_mul_f32 v[84:85], v[14:15], s[16:17] op_sel_hi:[1,0]
	v_pk_fma_f32 v[92:93], v[18:19], s[24:25], v[90:91] op_sel:[0,0,1] op_sel_hi:[1,0,0]
	v_pk_fma_f32 v[86:87], v[2:3], s[14:15], v[84:85] op_sel:[0,0,1] op_sel_hi:[1,0,0]
	v_pk_fma_f32 v[84:85], v[2:3], s[14:15], v[84:85] op_sel:[0,0,1] op_sel_hi:[1,0,0] neg_lo:[0,0,1] neg_hi:[0,0,1]
	v_mov_b32_e32 v88, v86
	v_mov_b32_e32 v89, v85
	v_pk_fma_f32 v[90:91], v[18:19], s[24:25], v[90:91] op_sel:[0,0,1] op_sel_hi:[1,0,0] neg_lo:[0,0,1] neg_hi:[0,0,1]
	v_pk_add_f32 v[88:89], v[0:1], v[88:89]
	v_mov_b32_e32 v94, v92
	v_mov_b32_e32 v95, v91
	s_mov_b32 s28, 0x3f68dda4
	v_pk_add_f32 v[88:89], v[94:95], v[88:89]
	v_pk_mul_f32 v[94:95], v[30:31], s[28:29] op_sel_hi:[1,0]
	v_add_u32_e32 v5, 0x800, v60
	v_pk_fma_f32 v[96:97], v[28:29], s[2:3], v[94:95] op_sel:[0,0,1] op_sel_hi:[1,0,0]
	v_pk_fma_f32 v[94:95], v[28:29], s[2:3], v[94:95] op_sel:[0,0,1] op_sel_hi:[1,0,0] neg_lo:[0,0,1] neg_hi:[0,0,1]
	v_mov_b32_e32 v98, v96
	v_mov_b32_e32 v99, v95
	v_pk_add_f32 v[88:89], v[98:99], v[88:89]
	v_pk_mul_f32 v[98:99], v[34:35], s[20:21] op_sel_hi:[1,0]
	v_pk_mul_f32 v[108:109], v[24:25], s[30:31] op_sel_hi:[1,0]
	v_pk_fma_f32 v[100:101], v[32:33], s[4:5], v[98:99] op_sel:[0,0,1] op_sel_hi:[1,0,0]
	v_pk_fma_f32 v[98:99], v[32:33], s[4:5], v[98:99] op_sel:[0,0,1] op_sel_hi:[1,0,0] neg_lo:[0,0,1] neg_hi:[0,0,1]
	v_mov_b32_e32 v102, v100
	v_mov_b32_e32 v103, v99
	v_pk_add_f32 v[88:89], v[102:103], v[88:89]
	v_pk_mul_f32 v[102:103], v[38:39], s[22:23] op_sel_hi:[1,0]
	v_pk_fma_f32 v[110:111], v[18:19], s[14:15], v[108:109] op_sel:[0,0,1] op_sel_hi:[1,0,0]
	v_pk_fma_f32 v[104:105], v[36:37], s[18:19], v[102:103] op_sel:[0,0,1] op_sel_hi:[1,0,0]
	v_pk_fma_f32 v[102:103], v[36:37], s[18:19], v[102:103] op_sel:[0,0,1] op_sel_hi:[1,0,0] neg_lo:[0,0,1] neg_hi:[0,0,1]
	v_mov_b32_e32 v106, v104
	v_mov_b32_e32 v107, v103
	v_pk_add_f32 v[88:89], v[106:107], v[88:89]
	ds_write2_b64 v5, v[8:9], v[88:89] offset0:38 offset1:185
	v_pk_mul_f32 v[8:9], v[14:15], s[22:23] op_sel_hi:[1,0]
	v_pk_fma_f32 v[108:109], v[18:19], s[14:15], v[108:109] op_sel:[0,0,1] op_sel_hi:[1,0,0] neg_lo:[0,0,1] neg_hi:[0,0,1]
	v_pk_fma_f32 v[88:89], v[2:3], s[18:19], v[8:9] op_sel:[0,0,1] op_sel_hi:[1,0,0]
	v_pk_fma_f32 v[8:9], v[2:3], s[18:19], v[8:9] op_sel:[0,0,1] op_sel_hi:[1,0,0] neg_lo:[0,0,1] neg_hi:[0,0,1]
	v_mov_b32_e32 v106, v88
	v_mov_b32_e32 v107, v9
	v_pk_add_f32 v[106:107], v[0:1], v[106:107]
	v_mov_b32_e32 v112, v110
	v_mov_b32_e32 v113, v109
	v_pk_add_f32 v[106:107], v[112:113], v[106:107]
	v_pk_mul_f32 v[112:113], v[30:31], s[20:21] op_sel_hi:[1,0]
	v_pk_mul_f32 v[14:15], v[14:15], s[26:27] op_sel_hi:[1,0]
	v_pk_fma_f32 v[114:115], v[28:29], s[4:5], v[112:113] op_sel:[0,0,1] op_sel_hi:[1,0,0]
	v_pk_fma_f32 v[112:113], v[28:29], s[4:5], v[112:113] op_sel:[0,0,1] op_sel_hi:[1,0,0] neg_lo:[0,0,1] neg_hi:[0,0,1]
	v_mov_b32_e32 v116, v114
	v_mov_b32_e32 v117, v113
	v_pk_add_f32 v[106:107], v[116:117], v[106:107]
	v_pk_mul_f32 v[116:117], v[34:35], s[26:27] op_sel_hi:[1,0]
	v_pk_mul_f32 v[24:25], v[24:25], s[34:35] op_sel_hi:[1,0]
	v_pk_fma_f32 v[118:119], v[32:33], s[24:25], v[116:117] op_sel:[0,0,1] op_sel_hi:[1,0,0]
	v_pk_fma_f32 v[116:117], v[32:33], s[24:25], v[116:117] op_sel:[0,0,1] op_sel_hi:[1,0,0] neg_lo:[0,0,1] neg_hi:[0,0,1]
	v_mov_b32_e32 v120, v118
	v_mov_b32_e32 v121, v117
	v_pk_add_f32 v[106:107], v[120:121], v[106:107]
	v_pk_mul_f32 v[120:121], v[38:39], s[28:29] op_sel_hi:[1,0]
	v_pk_fma_f32 v[126:127], v[18:19], s[4:5], v[24:25] op_sel:[0,0,1] op_sel_hi:[1,0,0]
	v_pk_fma_f32 v[122:123], v[36:37], s[2:3], v[120:121] op_sel:[0,0,1] op_sel_hi:[1,0,0]
	v_pk_fma_f32 v[120:121], v[36:37], s[2:3], v[120:121] op_sel:[0,0,1] op_sel_hi:[1,0,0] neg_lo:[0,0,1] neg_hi:[0,0,1]
	v_mov_b32_e32 v124, v122
	v_mov_b32_e32 v125, v121
	v_pk_add_f32 v[106:107], v[124:125], v[106:107]
	v_pk_fma_f32 v[124:125], v[2:3], s[24:25], v[14:15] op_sel:[0,0,1] op_sel_hi:[1,0,0]
	v_pk_fma_f32 v[2:3], v[2:3], s[24:25], v[14:15] op_sel:[0,0,1] op_sel_hi:[1,0,0] neg_lo:[0,0,1] neg_hi:[0,0,1]
	v_mov_b32_e32 v14, v124
	v_mov_b32_e32 v15, v3
	v_pk_fma_f32 v[18:19], v[18:19], s[4:5], v[24:25] op_sel:[0,0,1] op_sel_hi:[1,0,0] neg_lo:[0,0,1] neg_hi:[0,0,1]
	v_pk_add_f32 v[14:15], v[0:1], v[14:15]
	v_mov_b32_e32 v24, v126
	v_mov_b32_e32 v25, v19
	v_pk_add_f32 v[14:15], v[24:25], v[14:15]
	v_pk_mul_f32 v[24:25], v[30:31], s[22:23] op_sel_hi:[1,0]
	v_add_u32_e32 v3, 0x1000, v60
	v_pk_fma_f32 v[30:31], v[28:29], s[18:19], v[24:25] op_sel:[0,0,1] op_sel_hi:[1,0,0]
	v_pk_fma_f32 v[24:25], v[28:29], s[18:19], v[24:25] op_sel:[0,0,1] op_sel_hi:[1,0,0] neg_lo:[0,0,1] neg_hi:[0,0,1]
	v_mov_b32_e32 v28, v30
	v_mov_b32_e32 v29, v25
	v_pk_add_f32 v[14:15], v[28:29], v[14:15]
	v_pk_mul_f32 v[28:29], v[34:35], s[28:29] op_sel_hi:[1,0]
	v_mov_b32_e32 v9, v89
	v_pk_fma_f32 v[34:35], v[32:33], s[2:3], v[28:29] op_sel:[0,0,1] op_sel_hi:[1,0,0]
	v_pk_fma_f32 v[28:29], v[32:33], s[2:3], v[28:29] op_sel:[0,0,1] op_sel_hi:[1,0,0] neg_lo:[0,0,1] neg_hi:[0,0,1]
	v_mov_b32_e32 v32, v34
	v_mov_b32_e32 v33, v29
	v_pk_add_f32 v[14:15], v[32:33], v[14:15]
	v_pk_mul_f32 v[32:33], v[38:39], s[16:17] op_sel_hi:[1,0]
	v_mov_b32_e32 v19, v127
	v_pk_fma_f32 v[38:39], v[36:37], s[14:15], v[32:33] op_sel:[0,0,1] op_sel_hi:[1,0,0]
	v_pk_fma_f32 v[32:33], v[36:37], s[14:15], v[32:33] op_sel:[0,0,1] op_sel_hi:[1,0,0] neg_lo:[0,0,1] neg_hi:[0,0,1]
	v_mov_b32_e32 v36, v38
	v_mov_b32_e32 v37, v33
	v_pk_add_f32 v[14:15], v[36:37], v[14:15]
	ds_write2_b64 v3, v[106:107], v[14:15] offset0:76 offset1:223
	v_mov_b32_e32 v3, v125
	v_pk_add_f32 v[2:3], v[0:1], v[2:3]
	v_pk_add_f32 v[8:9], v[0:1], v[8:9]
	v_mov_b32_e32 v109, v111
	v_pk_add_f32 v[2:3], v[18:19], v[2:3]
	v_mov_b32_e32 v25, v31
	;; [unrolled: 2-line block ×7, first 2 shown]
	v_pk_add_f32 v[2:3], v[32:33], v[2:3]
	v_pk_add_f32 v[8:9], v[120:121], v[8:9]
	v_add_u32_e32 v5, 0x1a00, v60
	ds_write2_b64 v5, v[2:3], v[8:9] offset0:50 offset1:197
	v_mov_b32_e32 v85, v87
	v_mov_b32_e32 v5, v7
	;; [unrolled: 1-line block ×3, first 2 shown]
	v_pk_add_f32 v[2:3], v[0:1], v[84:85]
	v_mov_b32_e32 v91, v93
	v_pk_add_f32 v[4:5], v[0:1], v[4:5]
	v_mov_b32_e32 v11, v13
	;; [unrolled: 2-line block ×12, first 2 shown]
	v_pk_add_f32 v[2:3], v[102:103], v[2:3]
	v_pk_add_f32 v[4:5], v[44:45], v[4:5]
	v_add_u32_e32 v6, 0x2400, v60
	v_pk_add_f32 v[0:1], v[80:81], v[0:1]
	ds_write2_b64 v6, v[2:3], v[4:5] offset0:24 offset1:171
	ds_write_b64 v60, v[0:1] offset:11760
.LBB0_21:
	s_or_b64 exec, exec, s[0:1]
	s_waitcnt lgkmcnt(0)
	s_barrier
	ds_read2_b64 v[0:3], v60 offset1:231
	v_mad_u64_u32 v[10:11], s[0:1], s10, v66, 0
	v_mov_b32_e32 v4, v11
	v_mad_u64_u32 v[4:5], s[0:1], s11, v66, v[4:5]
	v_mov_b32_e32 v11, v4
	s_waitcnt lgkmcnt(0)
	v_mul_f32_e32 v4, v79, v1
	v_fmac_f32_e32 v4, v78, v0
	v_mul_f32_e32 v0, v79, v0
	s_mov_b32 s0, 0x929a339d
	v_fma_f32 v0, v78, v1, -v0
	s_mov_b32 s1, 0x3f4443c2
	v_cvt_f64_f32_e32 v[0:1], v0
	v_cvt_f64_f32_e32 v[4:5], v4
	v_mul_f64 v[0:1], v[0:1], s[0:1]
	v_mul_f64 v[4:5], v[4:5], s[0:1]
	v_cvt_f32_f64_e32 v13, v[0:1]
	v_mad_u64_u32 v[0:1], s[2:3], s8, v64, 0
	v_cvt_f32_f64_e32 v12, v[4:5]
	v_mov_b32_e32 v4, v1
	v_add_u32_e32 v1, 0x1080, v60
	v_mad_u64_u32 v[14:15], s[2:3], s9, v64, v[4:5]
	ds_read2_b64 v[4:7], v1 offset0:11 offset1:242
	v_mov_b32_e32 v8, s12
	v_mov_b32_e32 v9, s13
	;; [unrolled: 1-line block ×3, first 2 shown]
	v_lshl_add_u64 v[8:9], v[10:11], 3, v[8:9]
	v_lshl_add_u64 v[0:1], v[0:1], 3, v[8:9]
	s_waitcnt lgkmcnt(0)
	v_mul_f32_e32 v8, v77, v5
	v_fmac_f32_e32 v8, v76, v4
	v_mul_f32_e32 v4, v77, v4
	v_fma_f32 v4, v76, v5, -v4
	v_cvt_f64_f32_e32 v[4:5], v4
	v_cvt_f64_f32_e32 v[8:9], v8
	v_mul_f64 v[4:5], v[4:5], s[0:1]
	global_store_dwordx2 v[0:1], v[12:13], off
	v_mul_f64 v[8:9], v[8:9], s[0:1]
	v_cvt_f32_f64_e32 v13, v[4:5]
	v_add_u32_e32 v4, 0x2100, v60
	v_cvt_f32_f64_e32 v12, v[8:9]
	ds_read2_b64 v[8:11], v4 offset0:22 offset1:253
	s_mul_i32 s2, s9, 0x21b
	s_mul_hi_u32 s3, s8, 0x21b
	s_add_i32 s3, s3, s2
	s_mul_i32 s2, s8, 0x21b
	s_waitcnt lgkmcnt(0)
	v_mul_f32_e32 v4, v73, v9
	v_fmac_f32_e32 v4, v72, v8
	v_cvt_f64_f32_e32 v[4:5], v4
	v_mul_f64 v[4:5], v[4:5], s[0:1]
	v_cvt_f32_f64_e32 v4, v[4:5]
	v_mul_f32_e32 v5, v73, v8
	v_fma_f32 v5, v72, v9, -v5
	s_lshl_b64 s[2:3], s[2:3], 3
	v_cvt_f64_f32_e32 v[8:9], v5
	v_lshl_add_u64 v[0:1], v[0:1], 0, s[2:3]
	v_mul_f64 v[8:9], v[8:9], s[0:1]
	global_store_dwordx2 v[0:1], v[12:13], off
	v_cvt_f32_f64_e32 v5, v[8:9]
	v_lshl_add_u64 v[0:1], v[0:1], 0, s[2:3]
	global_store_dwordx2 v[0:1], v[4:5], off
	v_mul_f32_e32 v4, v75, v3
	v_fmac_f32_e32 v4, v74, v2
	v_mul_f32_e32 v2, v75, v2
	v_fma_f32 v2, v74, v3, -v2
	v_cvt_f64_f32_e32 v[4:5], v4
	v_cvt_f64_f32_e32 v[2:3], v2
	v_mul_f64 v[4:5], v[4:5], s[0:1]
	v_mul_f64 v[2:3], v[2:3], s[0:1]
	v_cvt_f32_f64_e32 v4, v[4:5]
	v_cvt_f32_f64_e32 v5, v[2:3]
	v_mul_f32_e32 v2, v71, v7
	v_fmac_f32_e32 v2, v70, v6
	s_mul_hi_u32 s5, s8, 0xfffffcb1
	v_cvt_f64_f32_e32 v[2:3], v2
	s_mul_i32 s4, s9, 0xfffffcb1
	s_sub_i32 s5, s5, s8
	v_mul_f64 v[2:3], v[2:3], s[0:1]
	s_add_i32 s5, s5, s4
	s_mul_i32 s4, s8, 0xfffffcb1
	v_cvt_f32_f64_e32 v2, v[2:3]
	v_mul_f32_e32 v3, v71, v6
	v_lshl_add_u64 v[0:1], s[4:5], 3, v[0:1]
	v_fma_f32 v3, v70, v7, -v3
	global_store_dwordx2 v[0:1], v[4:5], off
	v_cvt_f64_f32_e32 v[4:5], v3
	v_mul_f64 v[4:5], v[4:5], s[0:1]
	v_cvt_f32_f64_e32 v3, v[4:5]
	v_lshl_add_u64 v[0:1], v[0:1], 0, s[2:3]
	global_store_dwordx2 v[0:1], v[2:3], off
	v_mul_f32_e32 v2, v69, v11
	v_fmac_f32_e32 v2, v68, v10
	v_cvt_f64_f32_e32 v[2:3], v2
	v_mul_f64 v[2:3], v[2:3], s[0:1]
	v_cvt_f32_f64_e32 v2, v[2:3]
	v_mul_f32_e32 v3, v69, v10
	v_fma_f32 v3, v68, v11, -v3
	v_cvt_f64_f32_e32 v[4:5], v3
	v_mul_f64 v[4:5], v[4:5], s[0:1]
	v_cvt_f32_f64_e32 v3, v[4:5]
	v_lshl_add_u64 v[0:1], v[0:1], 0, s[2:3]
	global_store_dwordx2 v[0:1], v[2:3], off
	s_and_b64 exec, exec, s[6:7]
	s_cbranch_execz .LBB0_23
; %bb.22:
	s_movk_i32 s6, 0x1000
	v_add_co_u32_e32 v4, vcc, s6, v62
	global_load_dwordx2 v[2:3], v[62:63], off offset:3696
	s_nop 0
	v_addc_co_u32_e32 v5, vcc, 0, v63, vcc
	s_movk_i32 s6, 0x3000
	v_add_co_u32_e32 v6, vcc, s6, v62
	global_load_dwordx2 v[4:5], v[4:5], off offset:3912
	s_nop 0
	v_addc_co_u32_e32 v7, vcc, 0, v63, vcc
	global_load_dwordx2 v[6:7], v[6:7], off offset:32
	ds_read_b64 v[8:9], v60 offset:3696
	ds_read_b64 v[10:11], v60 offset:8008
	;; [unrolled: 1-line block ×3, first 2 shown]
	v_lshl_add_u64 v[0:1], s[4:5], 3, v[0:1]
	v_lshl_add_u64 v[14:15], v[0:1], 0, s[2:3]
	;; [unrolled: 1-line block ×3, first 2 shown]
	s_waitcnt vmcnt(2) lgkmcnt(2)
	v_mul_f32_e32 v18, v9, v3
	v_mul_f32_e32 v3, v8, v3
	v_fmac_f32_e32 v18, v8, v2
	v_fma_f32 v8, v2, v9, -v3
	v_cvt_f64_f32_e32 v[2:3], v18
	v_cvt_f64_f32_e32 v[8:9], v8
	s_waitcnt vmcnt(1) lgkmcnt(1)
	v_mul_f32_e32 v18, v11, v5
	v_mul_f32_e32 v5, v10, v5
	v_mul_f64 v[2:3], v[2:3], s[0:1]
	s_waitcnt vmcnt(0) lgkmcnt(0)
	v_mul_f32_e32 v19, v13, v7
	v_mul_f32_e32 v7, v12, v7
	v_mul_f64 v[8:9], v[8:9], s[0:1]
	v_fmac_f32_e32 v18, v10, v4
	v_fma_f32 v10, v4, v11, -v5
	v_fmac_f32_e32 v19, v12, v6
	v_fma_f32 v11, v6, v13, -v7
	v_cvt_f32_f64_e32 v2, v[2:3]
	v_cvt_f32_f64_e32 v3, v[8:9]
	v_cvt_f64_f32_e32 v[4:5], v18
	v_cvt_f64_f32_e32 v[6:7], v10
	v_cvt_f64_f32_e32 v[8:9], v19
	v_cvt_f64_f32_e32 v[10:11], v11
	global_store_dwordx2 v[0:1], v[2:3], off
	v_mul_f64 v[0:1], v[4:5], s[0:1]
	v_mul_f64 v[2:3], v[6:7], s[0:1]
	;; [unrolled: 1-line block ×4, first 2 shown]
	v_cvt_f32_f64_e32 v0, v[0:1]
	v_cvt_f32_f64_e32 v1, v[2:3]
	v_cvt_f32_f64_e32 v2, v[4:5]
	v_cvt_f32_f64_e32 v3, v[6:7]
	global_store_dwordx2 v[14:15], v[0:1], off
	global_store_dwordx2 v[16:17], v[2:3], off
.LBB0_23:
	s_endpgm
	.section	.rodata,"a",@progbits
	.p2align	6, 0x0
	.amdhsa_kernel bluestein_single_back_len1617_dim1_sp_op_CI_CI
		.amdhsa_group_segment_fixed_size 12936
		.amdhsa_private_segment_fixed_size 0
		.amdhsa_kernarg_size 104
		.amdhsa_user_sgpr_count 2
		.amdhsa_user_sgpr_dispatch_ptr 0
		.amdhsa_user_sgpr_queue_ptr 0
		.amdhsa_user_sgpr_kernarg_segment_ptr 1
		.amdhsa_user_sgpr_dispatch_id 0
		.amdhsa_user_sgpr_kernarg_preload_length 0
		.amdhsa_user_sgpr_kernarg_preload_offset 0
		.amdhsa_user_sgpr_private_segment_size 0
		.amdhsa_uses_dynamic_stack 0
		.amdhsa_enable_private_segment 0
		.amdhsa_system_sgpr_workgroup_id_x 1
		.amdhsa_system_sgpr_workgroup_id_y 0
		.amdhsa_system_sgpr_workgroup_id_z 0
		.amdhsa_system_sgpr_workgroup_info 0
		.amdhsa_system_vgpr_workitem_id 0
		.amdhsa_next_free_vgpr 204
		.amdhsa_next_free_sgpr 38
		.amdhsa_accum_offset 204
		.amdhsa_reserve_vcc 1
		.amdhsa_float_round_mode_32 0
		.amdhsa_float_round_mode_16_64 0
		.amdhsa_float_denorm_mode_32 3
		.amdhsa_float_denorm_mode_16_64 3
		.amdhsa_dx10_clamp 1
		.amdhsa_ieee_mode 1
		.amdhsa_fp16_overflow 0
		.amdhsa_tg_split 0
		.amdhsa_exception_fp_ieee_invalid_op 0
		.amdhsa_exception_fp_denorm_src 0
		.amdhsa_exception_fp_ieee_div_zero 0
		.amdhsa_exception_fp_ieee_overflow 0
		.amdhsa_exception_fp_ieee_underflow 0
		.amdhsa_exception_fp_ieee_inexact 0
		.amdhsa_exception_int_div_zero 0
	.end_amdhsa_kernel
	.text
.Lfunc_end0:
	.size	bluestein_single_back_len1617_dim1_sp_op_CI_CI, .Lfunc_end0-bluestein_single_back_len1617_dim1_sp_op_CI_CI
                                        ; -- End function
	.section	.AMDGPU.csdata,"",@progbits
; Kernel info:
; codeLenInByte = 11364
; NumSgprs: 44
; NumVgprs: 204
; NumAgprs: 0
; TotalNumVgprs: 204
; ScratchSize: 0
; MemoryBound: 0
; FloatMode: 240
; IeeeMode: 1
; LDSByteSize: 12936 bytes/workgroup (compile time only)
; SGPRBlocks: 5
; VGPRBlocks: 25
; NumSGPRsForWavesPerEU: 44
; NumVGPRsForWavesPerEU: 204
; AccumOffset: 204
; Occupancy: 2
; WaveLimiterHint : 1
; COMPUTE_PGM_RSRC2:SCRATCH_EN: 0
; COMPUTE_PGM_RSRC2:USER_SGPR: 2
; COMPUTE_PGM_RSRC2:TRAP_HANDLER: 0
; COMPUTE_PGM_RSRC2:TGID_X_EN: 1
; COMPUTE_PGM_RSRC2:TGID_Y_EN: 0
; COMPUTE_PGM_RSRC2:TGID_Z_EN: 0
; COMPUTE_PGM_RSRC2:TIDIG_COMP_CNT: 0
; COMPUTE_PGM_RSRC3_GFX90A:ACCUM_OFFSET: 50
; COMPUTE_PGM_RSRC3_GFX90A:TG_SPLIT: 0
	.text
	.p2alignl 6, 3212836864
	.fill 256, 4, 3212836864
	.type	__hip_cuid_bc5f35df42d92031,@object ; @__hip_cuid_bc5f35df42d92031
	.section	.bss,"aw",@nobits
	.globl	__hip_cuid_bc5f35df42d92031
__hip_cuid_bc5f35df42d92031:
	.byte	0                               ; 0x0
	.size	__hip_cuid_bc5f35df42d92031, 1

	.ident	"AMD clang version 19.0.0git (https://github.com/RadeonOpenCompute/llvm-project roc-6.4.0 25133 c7fe45cf4b819c5991fe208aaa96edf142730f1d)"
	.section	".note.GNU-stack","",@progbits
	.addrsig
	.addrsig_sym __hip_cuid_bc5f35df42d92031
	.amdgpu_metadata
---
amdhsa.kernels:
  - .agpr_count:     0
    .args:
      - .actual_access:  read_only
        .address_space:  global
        .offset:         0
        .size:           8
        .value_kind:     global_buffer
      - .actual_access:  read_only
        .address_space:  global
        .offset:         8
        .size:           8
        .value_kind:     global_buffer
      - .actual_access:  read_only
        .address_space:  global
        .offset:         16
        .size:           8
        .value_kind:     global_buffer
      - .actual_access:  read_only
        .address_space:  global
        .offset:         24
        .size:           8
        .value_kind:     global_buffer
      - .actual_access:  read_only
        .address_space:  global
        .offset:         32
        .size:           8
        .value_kind:     global_buffer
      - .offset:         40
        .size:           8
        .value_kind:     by_value
      - .address_space:  global
        .offset:         48
        .size:           8
        .value_kind:     global_buffer
      - .address_space:  global
        .offset:         56
        .size:           8
        .value_kind:     global_buffer
      - .address_space:  global
        .offset:         64
        .size:           8
        .value_kind:     global_buffer
      - .address_space:  global
        .offset:         72
        .size:           8
        .value_kind:     global_buffer
      - .offset:         80
        .size:           4
        .value_kind:     by_value
      - .address_space:  global
        .offset:         88
        .size:           8
        .value_kind:     global_buffer
      - .address_space:  global
        .offset:         96
        .size:           8
        .value_kind:     global_buffer
    .group_segment_fixed_size: 12936
    .kernarg_segment_align: 8
    .kernarg_segment_size: 104
    .language:       OpenCL C
    .language_version:
      - 2
      - 0
    .max_flat_workgroup_size: 231
    .name:           bluestein_single_back_len1617_dim1_sp_op_CI_CI
    .private_segment_fixed_size: 0
    .sgpr_count:     44
    .sgpr_spill_count: 0
    .symbol:         bluestein_single_back_len1617_dim1_sp_op_CI_CI.kd
    .uniform_work_group_size: 1
    .uses_dynamic_stack: false
    .vgpr_count:     204
    .vgpr_spill_count: 0
    .wavefront_size: 64
amdhsa.target:   amdgcn-amd-amdhsa--gfx950
amdhsa.version:
  - 1
  - 2
...

	.end_amdgpu_metadata
